;; amdgpu-corpus repo=ROCm/rocFFT kind=compiled arch=gfx1201 opt=O3
	.text
	.amdgcn_target "amdgcn-amd-amdhsa--gfx1201"
	.amdhsa_code_object_version 6
	.protected	bluestein_single_back_len1430_dim1_half_op_CI_CI ; -- Begin function bluestein_single_back_len1430_dim1_half_op_CI_CI
	.globl	bluestein_single_back_len1430_dim1_half_op_CI_CI
	.p2align	8
	.type	bluestein_single_back_len1430_dim1_half_op_CI_CI,@function
bluestein_single_back_len1430_dim1_half_op_CI_CI: ; @bluestein_single_back_len1430_dim1_half_op_CI_CI
; %bb.0:
	s_load_b128 s[8:11], s[0:1], 0x28
	v_mul_u32_u24_e32 v1, 0x1cb, v0
	s_mov_b32 s2, exec_lo
	v_mov_b32_e32 v17, 0
	s_delay_alu instid0(VALU_DEP_2) | instskip(NEXT) | instid1(VALU_DEP_1)
	v_lshrrev_b32_e32 v1, 16, v1
	v_add_nc_u32_e32 v16, ttmp9, v1
	s_wait_kmcnt 0x0
	s_delay_alu instid0(VALU_DEP_1)
	v_cmpx_gt_u64_e64 s[8:9], v[16:17]
	s_cbranch_execz .LBB0_23
; %bb.1:
	s_clause 0x1
	s_load_b64 s[20:21], s[0:1], 0x0
	s_load_b64 s[8:9], s[0:1], 0x38
	v_mul_lo_u16 v1, 0x8f, v1
	s_delay_alu instid0(VALU_DEP_1) | instskip(NEXT) | instid1(VALU_DEP_1)
	v_sub_nc_u16 v0, v0, v1
	v_and_b32_e32 v34, 0xffff, v0
	v_cmp_gt_u16_e32 vcc_lo, 0x6e, v0
	s_delay_alu instid0(VALU_DEP_2)
	v_lshlrev_b32_e32 v33, 2, v34
	s_and_saveexec_b32 s3, vcc_lo
	s_cbranch_execz .LBB0_3
; %bb.2:
	s_load_b64 s[4:5], s[0:1], 0x18
	s_delay_alu instid0(VALU_DEP_1)
	v_add_nc_u32_e32 v29, 0xa00, v33
	s_wait_kmcnt 0x0
	s_load_b128 s[4:7], s[4:5], 0x0
	s_wait_kmcnt 0x0
	v_mad_co_u64_u32 v[0:1], null, s6, v16, 0
	v_mad_co_u64_u32 v[2:3], null, s4, v34, 0
	s_delay_alu instid0(VALU_DEP_1) | instskip(NEXT) | instid1(VALU_DEP_1)
	v_mad_co_u64_u32 v[4:5], null, s7, v16, v[1:2]
	v_mad_co_u64_u32 v[5:6], null, s5, v34, v[3:4]
	v_mov_b32_e32 v1, v4
	s_mul_u64 s[4:5], s[4:5], 0x1b8
	s_delay_alu instid0(VALU_DEP_1) | instskip(NEXT) | instid1(VALU_DEP_3)
	v_lshlrev_b64_e32 v[0:1], 2, v[0:1]
	v_mov_b32_e32 v3, v5
	s_clause 0x7
	global_load_b32 v4, v33, s[20:21]
	global_load_b32 v5, v33, s[20:21] offset:440
	global_load_b32 v6, v33, s[20:21] offset:880
	;; [unrolled: 1-line block ×7, first 2 shown]
	v_add_co_u32 v0, s2, s10, v0
	v_lshlrev_b64_e32 v[2:3], 2, v[2:3]
	v_add_co_ci_u32_e64 v1, s2, s11, v1, s2
	s_delay_alu instid0(VALU_DEP_2) | instskip(SKIP_1) | instid1(VALU_DEP_2)
	v_add_co_u32 v0, s2, v0, v2
	s_wait_alu 0xf1ff
	v_add_co_ci_u32_e64 v1, s2, v1, v3, s2
	global_load_b32 v12, v[0:1], off
	s_wait_alu 0xfffe
	v_add_co_u32 v0, s2, v0, s4
	s_wait_alu 0xf1ff
	v_add_co_ci_u32_e64 v1, s2, s5, v1, s2
	s_clause 0x3
	global_load_b32 v13, v33, s[20:21] offset:3520
	global_load_b32 v14, v33, s[20:21] offset:3960
	;; [unrolled: 1-line block ×4, first 2 shown]
	global_load_b32 v18, v[0:1], off
	v_add_co_u32 v0, s2, v0, s4
	s_wait_alu 0xf1ff
	v_add_co_ci_u32_e64 v1, s2, s5, v1, s2
	global_load_b32 v19, v33, s[20:21] offset:5280
	v_add_co_u32 v2, s2, v0, s4
	s_wait_alu 0xf1ff
	v_add_co_ci_u32_e64 v3, s2, s5, v1, s2
	global_load_b32 v20, v[0:1], off
	v_add_co_u32 v0, s2, v2, s4
	s_wait_alu 0xf1ff
	v_add_co_ci_u32_e64 v1, s2, s5, v3, s2
	s_clause 0x1
	global_load_b32 v21, v[2:3], off
	global_load_b32 v22, v[0:1], off
	v_add_co_u32 v0, s2, v0, s4
	s_wait_alu 0xf1ff
	v_add_co_ci_u32_e64 v1, s2, s5, v1, s2
	s_delay_alu instid0(VALU_DEP_2) | instskip(SKIP_1) | instid1(VALU_DEP_2)
	v_add_co_u32 v2, s2, v0, s4
	s_wait_alu 0xf1ff
	v_add_co_ci_u32_e64 v3, s2, s5, v1, s2
	global_load_b32 v23, v[0:1], off
	v_add_co_u32 v0, s2, v2, s4
	s_wait_alu 0xf1ff
	v_add_co_ci_u32_e64 v1, s2, s5, v3, s2
	global_load_b32 v24, v[2:3], off
	global_load_b32 v25, v[0:1], off
	v_add_co_u32 v0, s2, v0, s4
	s_wait_alu 0xf1ff
	v_add_co_ci_u32_e64 v1, s2, s5, v1, s2
	s_delay_alu instid0(VALU_DEP_2) | instskip(SKIP_1) | instid1(VALU_DEP_2)
	v_add_co_u32 v2, s2, v0, s4
	s_wait_alu 0xf1ff
	v_add_co_ci_u32_e64 v3, s2, s5, v1, s2
	global_load_b32 v26, v[0:1], off
	v_add_co_u32 v0, s2, v2, s4
	s_wait_alu 0xf1ff
	v_add_co_ci_u32_e64 v1, s2, s5, v3, s2
	global_load_b32 v27, v[2:3], off
	;; [unrolled: 4-line block ×4, first 2 shown]
	global_load_b32 v0, v[0:1], off
	v_add_nc_u32_e32 v1, 0x200, v33
	v_add_nc_u32_e32 v3, 0x600, v33
	s_wait_loadcnt 0x19
	v_lshrrev_b32_e32 v30, 16, v4
	s_wait_loadcnt 0x18
	v_lshrrev_b32_e32 v31, 16, v5
	;; [unrolled: 2-line block ×9, first 2 shown]
	v_mul_f16_e32 v45, v30, v12
	s_wait_loadcnt 0x10
	v_lshrrev_b32_e32 v40, 16, v13
	s_wait_loadcnt 0xf
	v_lshrrev_b32_e32 v42, 16, v14
	;; [unrolled: 2-line block ×3, first 2 shown]
	v_mul_f16_e32 v30, v30, v41
	s_wait_loadcnt 0xc
	v_lshrrev_b32_e32 v46, 16, v18
	v_mul_f16_e32 v48, v31, v18
	v_fma_f16 v41, v4, v41, -v45
	v_lshrrev_b32_e32 v44, 16, v17
	v_fmac_f16_e32 v30, v4, v12
	v_mul_f16_e32 v4, v31, v46
	v_fma_f16 v31, v5, v46, -v48
	s_wait_loadcnt 0xb
	v_lshrrev_b32_e32 v47, 16, v19
	s_wait_loadcnt 0xa
	v_lshrrev_b32_e32 v12, 16, v20
	v_mul_f16_e32 v45, v32, v20
	v_fmac_f16_e32 v4, v5, v18
	v_pack_b32_f16 v30, v30, v41
	s_delay_alu instid0(VALU_DEP_4)
	v_mul_f16_e32 v5, v32, v12
	s_wait_loadcnt 0x9
	v_lshrrev_b32_e32 v18, 16, v21
	v_mul_f16_e32 v32, v35, v21
	v_fma_f16 v12, v6, v12, -v45
	v_pack_b32_f16 v4, v4, v31
	v_fmac_f16_e32 v5, v6, v20
	v_mul_f16_e32 v6, v35, v18
	s_wait_loadcnt 0x8
	v_lshrrev_b32_e32 v20, 16, v22
	v_fma_f16 v18, v7, v18, -v32
	v_mul_f16_e32 v31, v36, v22
	ds_store_2addr_b32 v33, v30, v4 offset1:110
	v_pack_b32_f16 v4, v5, v12
	v_fmac_f16_e32 v6, v7, v21
	v_mul_f16_e32 v5, v36, v20
	s_wait_loadcnt 0x7
	v_lshrrev_b32_e32 v7, 16, v23
	v_mul_f16_e32 v12, v37, v23
	v_fma_f16 v20, v8, v20, -v31
	v_pack_b32_f16 v6, v6, v18
	v_fmac_f16_e32 v5, v8, v22
	v_mul_f16_e32 v8, v37, v7
	v_fma_f16 v7, v9, v7, -v12
	s_wait_loadcnt 0x6
	v_lshrrev_b32_e32 v12, 16, v24
	ds_store_2addr_b32 v1, v4, v6 offset0:92 offset1:202
	v_pack_b32_f16 v1, v5, v20
	v_fmac_f16_e32 v8, v9, v23
	s_wait_loadcnt 0x5
	v_lshrrev_b32_e32 v5, 16, v25
	v_mul_f16_e32 v18, v38, v24
	v_mul_f16_e32 v4, v38, v12
	;; [unrolled: 1-line block ×3, first 2 shown]
	v_pack_b32_f16 v7, v8, v7
	v_mul_f16_e32 v8, v39, v5
	v_fma_f16 v6, v10, v12, -v18
	v_fmac_f16_e32 v4, v10, v24
	s_wait_loadcnt 0x4
	v_lshrrev_b32_e32 v10, 16, v26
	v_fma_f16 v5, v11, v5, -v9
	v_mul_f16_e32 v9, v40, v26
	v_fmac_f16_e32 v8, v11, v25
	s_wait_loadcnt 0x3
	v_lshrrev_b32_e32 v11, 16, v27
	v_pack_b32_f16 v4, v4, v6
	v_mul_f16_e32 v6, v40, v10
	v_fma_f16 v9, v13, v10, -v9
	v_mul_f16_e32 v10, v42, v27
	v_pack_b32_f16 v5, v8, v5
	v_mul_f16_e32 v8, v42, v11
	v_fmac_f16_e32 v6, v13, v26
	s_wait_loadcnt 0x2
	v_lshrrev_b32_e32 v12, 16, v28
	v_fma_f16 v10, v14, v11, -v10
	v_mul_f16_e32 v11, v43, v28
	v_fmac_f16_e32 v8, v14, v27
	s_wait_loadcnt 0x1
	v_lshrrev_b32_e32 v13, 16, v2
	s_wait_loadcnt 0x0
	v_lshrrev_b32_e32 v14, 16, v0
	v_pack_b32_f16 v6, v6, v9
	v_mul_f16_e32 v9, v43, v12
	v_fma_f16 v11, v15, v12, -v11
	v_mul_f16_e32 v12, v44, v2
	v_pack_b32_f16 v8, v8, v10
	v_mul_f16_e32 v10, v44, v13
	v_mul_f16_e32 v18, v47, v14
	v_mul_f16_e32 v20, v47, v0
	v_fmac_f16_e32 v9, v15, v28
	v_fma_f16 v12, v17, v13, -v12
	v_fmac_f16_e32 v10, v17, v2
	v_add_nc_u32_e32 v2, 0xc00, v33
	v_fmac_f16_e32 v18, v19, v0
	v_fma_f16 v0, v19, v14, -v20
	v_pack_b32_f16 v9, v9, v11
	v_pack_b32_f16 v10, v10, v12
	v_add_nc_u32_e32 v11, 0x1000, v33
	s_delay_alu instid0(VALU_DEP_4)
	v_pack_b32_f16 v0, v18, v0
	ds_store_2addr_b32 v3, v1, v7 offset0:56 offset1:166
	ds_store_2addr_b32 v29, v4, v5 offset0:20 offset1:130
	;; [unrolled: 1-line block ×4, first 2 shown]
	ds_store_b32 v33, v0 offset:5280
.LBB0_3:
	s_or_b32 exec_lo, exec_lo, s3
	v_mov_b32_e32 v0, 0
	global_wb scope:SCOPE_SE
	s_wait_dscnt 0x0
	s_wait_kmcnt 0x0
	s_barrier_signal -1
	s_barrier_wait -1
	global_inv scope:SCOPE_SE
                                        ; implicit-def: $vgpr5
                                        ; implicit-def: $vgpr6
                                        ; implicit-def: $vgpr9
                                        ; implicit-def: $vgpr2
                                        ; implicit-def: $vgpr11
                                        ; implicit-def: $vgpr12
	s_and_saveexec_b32 s2, vcc_lo
	s_cbranch_execz .LBB0_5
; %bb.4:
	v_add_nc_u32_e32 v2, 0x200, v33
	v_add_nc_u32_e32 v3, 0x600, v33
	;; [unrolled: 1-line block ×5, first 2 shown]
	ds_load_2addr_b32 v[0:1], v33 offset1:110
	ds_load_2addr_b32 v[10:11], v2 offset0:92 offset1:202
	ds_load_2addr_b32 v[8:9], v3 offset0:56 offset1:166
	;; [unrolled: 1-line block ×5, first 2 shown]
	ds_load_b32 v12, v33 offset:5280
.LBB0_5:
	s_wait_alu 0xfffe
	s_or_b32 exec_lo, exec_lo, s2
	s_wait_dscnt 0x0
	v_pk_add_f16 v18, v1, v12 neg_lo:[0,1] neg_hi:[0,1]
	v_pk_add_f16 v19, v12, v1
	v_pk_add_f16 v1, v1, v0
	v_pk_add_f16 v38, v10, v3 neg_lo:[0,1] neg_hi:[0,1]
	v_pk_add_f16 v42, v3, v10
	v_lshrrev_b32_e32 v13, 16, v18
	v_lshrrev_b32_e32 v14, 16, v19
	v_mul_f16_e32 v15, 0xba95, v18
	v_pk_add_f16 v1, v10, v1
	v_mul_f16_e32 v17, 0xb770, v18
	v_mul_f16_e32 v21, 0xb770, v13
	;; [unrolled: 1-line block ×3, first 2 shown]
	v_fmamk_f16 v25, v14, 0x388b, v15
	v_mul_f16_e32 v26, 0xbbf1, v13
	v_mul_f16_e32 v29, 0xbb7b, v13
	;; [unrolled: 1-line block ×3, first 2 shown]
	v_fma_f16 v31, v14, 0x388b, -v15
	v_mul_f16_e32 v37, 0xb94e, v13
	v_mul_f16_e32 v13, 0xb94e, v18
	v_lshrrev_b32_e32 v15, 16, v38
	v_mul_f16_e32 v41, 0xb3a8, v18
	v_pk_add_f16 v60, v11, v2 neg_lo:[0,1] neg_hi:[0,1]
	v_pk_add_f16 v1, v11, v1
	v_mul_f16_e32 v22, 0x3b15, v14
	v_fma_f16 v24, v14, 0x3b15, -v17
	v_fmamk_f16 v27, v19, 0x3b15, v21
	v_fma_f16 v28, v19, 0x388b, -v23
	v_fmac_f16_e32 v23, 0x388b, v19
	v_fmamk_f16 v36, v14, 0xb5ac, v30
	v_fma_f16 v30, v14, 0xb5ac, -v30
	v_fmamk_f16 v40, v14, 0xb9fd, v13
	v_fma_f16 v43, v14, 0xb9fd, -v13
	v_mul_f16_e32 v44, 0xba95, v15
	v_fmamk_f16 v13, v14, 0xbbc4, v41
	v_lshrrev_b32_e32 v45, 16, v42
	v_fma_f16 v41, v14, 0xbbc4, -v41
	v_mul_f16_e32 v48, 0xbb7b, v15
	v_mul_f16_e32 v14, 0xbb7b, v38
	v_lshrrev_b32_e32 v63, 16, v60
	v_pk_add_f16 v82, v8, v7 neg_lo:[0,1] neg_hi:[0,1]
	v_pk_add_f16 v1, v8, v1
	v_fma_f16 v32, v19, 0x2fb7, -v26
	v_mul_f16_e32 v46, 0xba95, v38
	v_fma_f16 v47, v42, 0x388b, -v44
	v_fmac_f16_e32 v44, 0x388b, v42
	v_fma_f16 v50, v42, 0xb5ac, -v48
	v_fmamk_f16 v51, v45, 0xb5ac, v14
	v_mul_f16_e32 v52, 0xb3a8, v15
	v_fmac_f16_e32 v48, 0xb5ac, v42
	v_mul_f16_e32 v54, 0x394e, v38
	v_fma_f16 v55, v45, 0xb5ac, -v14
	v_mul_f16_e32 v14, 0x3bf1, v38
	v_pk_add_f16 v64, v2, v11
	v_mul_f16_e32 v70, 0xb3a8, v63
	v_lshrrev_b32_e32 v85, 16, v82
	v_pk_add_f16 v90, v6, v9
	v_pk_add_f16 v91, v9, v6 neg_lo:[0,1] neg_hi:[0,1]
	v_pk_add_f16 v1, v9, v1
	v_lshrrev_b32_e32 v9, 16, v0
	v_add_f16_e32 v27, v27, v0
	v_add_f16_e32 v23, v23, v0
	v_fma_f16 v35, v19, 0xb5ac, -v29
	v_fmamk_f16 v49, v45, 0x388b, v46
	v_fma_f16 v46, v45, 0x388b, -v46
	v_mul_f16_e32 v53, 0x394e, v15
	v_fma_f16 v56, v42, 0xbbc4, -v52
	v_fmamk_f16 v58, v45, 0xb9fd, v54
	v_fma_f16 v54, v45, 0xb9fd, -v54
	v_fmamk_f16 v62, v45, 0x2fb7, v14
	v_fma_f16 v65, v45, 0x2fb7, -v14
	v_mul_f16_e32 v14, 0x3770, v38
	v_mul_f16_e32 v66, 0xbbf1, v63
	v_lshrrev_b32_e32 v67, 16, v64
	v_mul_f16_e32 v68, 0xbbf1, v60
	v_mul_f16_e32 v71, 0xb3a8, v60
	v_fma_f16 v73, v64, 0xbbc4, -v70
	v_mul_f16_e32 v75, 0x3b7b, v63
	v_fmac_f16_e32 v70, 0xbbc4, v64
	v_mul_f16_e32 v77, 0x3770, v60
	v_mul_f16_e32 v81, 0xba95, v60
	v_pk_add_f16 v86, v7, v8
	v_add_f16_e32 v24, v24, v9
	v_add_f16_e32 v27, v44, v27
	v_mul_f16_e32 v44, 0x394e, v85
	v_add_f16_e32 v28, v28, v0
	v_add_f16_e32 v31, v31, v9
	;; [unrolled: 1-line block ×6, first 2 shown]
	v_fma_f16 v57, v42, 0xb9fd, -v53
	v_mul_f16_e32 v59, 0x3bf1, v15
	v_mul_f16_e32 v15, 0x3b15, v45
	v_fma_f16 v45, v45, 0x3b15, -v14
	v_fma_f16 v69, v64, 0x2fb7, -v66
	v_fmamk_f16 v72, v67, 0x2fb7, v68
	v_fmac_f16_e32 v66, 0x2fb7, v64
	v_fma_f16 v68, v67, 0x2fb7, -v68
	v_fmamk_f16 v74, v67, 0xbbc4, v71
	v_mul_f16_e32 v76, 0x3770, v63
	v_fma_f16 v71, v67, 0xbbc4, -v71
	v_fma_f16 v78, v64, 0xb5ac, -v75
	v_fmamk_f16 v80, v67, 0x3b15, v77
	v_fma_f16 v77, v67, 0x3b15, -v77
	v_fmamk_f16 v84, v67, 0x388b, v81
	v_mul_f16_e32 v10, 0xb94e, v60
	v_fma_f16 v81, v67, 0x388b, -v81
	v_add_f16_e32 v25, v25, v9
	v_add_f16_e32 v24, v46, v24
	;; [unrolled: 1-line block ×3, first 2 shown]
	v_fma_f16 v50, v86, 0xb9fd, -v44
	v_mul_f16_e32 v48, 0x3770, v85
	v_fmac_f16_e32 v44, 0xb9fd, v86
	v_add_f16_e32 v31, v55, v31
	v_add_f16_e32 v32, v56, v32
	;; [unrolled: 1-line block ×8, first 2 shown]
	v_mul_f16_e32 v20, 0x3b15, v19
	v_fma_f16 v79, v64, 0x3b15, -v76
	v_mul_f16_e32 v87, 0xbb7b, v85
	v_mul_f16_e32 v11, 0xb9fd, v67
	v_fma_f16 v67, v67, 0xb9fd, -v10
	v_lshrrev_b32_e32 v89, 16, v86
	v_mul_f16_e32 v8, 0xbb7b, v82
	v_pk_mul_f16 v18, 0xb3a8bbf1, v18
	v_add_f16_e32 v25, v51, v25
	v_fma_f16 v55, v86, 0x3b15, -v48
	v_add_f16_e32 v35, v57, v35
	v_add_f16_e32 v40, v62, v40
	;; [unrolled: 1-line block ×4, first 2 shown]
	v_lshrrev_b32_e32 v66, 16, v90
	v_add_f16_e32 v24, v68, v24
	v_mul_f16_e32 v68, 0xb94e, v91
	v_add_f16_e32 v31, v71, v31
	v_mul_f16_e32 v71, 0x3bf1, v91
	v_add_f16_e32 v32, v78, v32
	v_add_f16_e32 v30, v77, v30
	v_mul_f16_e32 v77, 0x33a8, v91
	v_add_f16_e32 v43, v81, v43
	v_mul_f16_e32 v81, 0x3770, v91
	;; [unrolled: 2-line block ×3, first 2 shown]
	v_fmac_f16_e32 v26, 0x2fb7, v19
	v_fmac_f16_e32 v29, 0xb5ac, v19
	v_fma_f16 v39, v19, 0xb9fd, -v37
	v_fmac_f16_e32 v37, 0xb9fd, v19
	v_fma_f16 v88, v86, 0xb5ac, -v87
	v_pk_fma_f16 v92, 0x2fb7bbc4, v19, v18 op_sel:[0,0,1] op_sel_hi:[1,1,0]
	v_pk_fma_f16 v18, 0x2fb7bbc4, v19, v18 op_sel:[0,0,1] op_sel_hi:[1,1,0] neg_lo:[0,0,1] neg_hi:[0,0,1]
	v_fmamk_f16 v19, v89, 0xb5ac, v8
	v_fmac_f16_e32 v87, 0xb5ac, v86
	v_fma_f16 v8, v89, 0xb5ac, -v8
	v_add_f16_e32 v28, v73, v28
	v_add_f16_e32 v25, v74, v25
	v_fmamk_f16 v74, v66, 0xb9fd, v68
	v_fma_f16 v68, v66, 0xb9fd, -v68
	v_add_f16_e32 v35, v79, v35
	v_fmamk_f16 v79, v66, 0x2fb7, v71
	v_fma_f16 v71, v66, 0x2fb7, -v71
	;; [unrolled: 3-line block ×4, first 2 shown]
	v_mul_f16_e32 v93, 0xb5ac, v66
	v_add_f16_e32 v32, v55, v32
	v_fma_f16 v55, v66, 0xb5ac, -v44
	v_alignbit_b32 v47, v47, v6, 16
	v_alignbit_b32 v66, v69, v7, 16
	v_perm_b32 v6, v6, v49, 0x5040100
	v_alignbit_b32 v49, s0, v1, 16
	v_alignbit_b32 v69, s0, v4, 16
	v_lshlrev_b32_e32 v20, 16, v20
	v_alignbit_b32 v21, v21, v4, 16
	v_add_f16_e32 v27, v87, v27
	v_pk_add_f16 v87, v4, v5 neg_lo:[0,1] neg_hi:[0,1]
	v_add_f16_e32 v8, v8, v24
	v_add_f16_e32 v24, v50, v28
	v_pk_add_f16 v50, v5, v4
	v_pk_add_f16 v49, v49, v69
	v_pk_add_f16 v20, v20, v21 neg_lo:[0,1] neg_hi:[0,1]
	v_pack_b32_f16 v1, v22, v1
	v_perm_b32 v4, v4, v17, 0x5040100
	v_alignbit_b32 v21, v0, v5, 16
	v_alignbit_b32 v5, v5, v0, 16
	v_bfi_b32 v20, 0xffff, v49, v20
	v_fmac_f16_e32 v53, 0xb9fd, v42
	v_pk_add_f16 v1, v4, v1
	v_fma_f16 v61, v42, 0x2fb7, -v59
	v_fmac_f16_e32 v59, 0x2fb7, v42
	v_mul_f16_e32 v63, 0xba95, v63
	v_add_f16_e32 v29, v29, v0
	v_add_f16_e32 v37, v37, v0
	v_pk_mul_f16 v38, 0x3770b3a8, v38
	v_lshrrev_b32_e32 v62, 16, v91
	v_pk_add_f16 v20, v21, v20
	v_pk_add_f16 v1, v1, v5
	v_fmac_f16_e32 v52, 0xbbc4, v42
	v_fma_f16 v83, v64, 0x388b, -v63
	v_fmac_f16_e32 v63, 0x388b, v64
	v_add_f16_e32 v26, v26, v0
	v_add_f16_e32 v39, v39, v0
	;; [unrolled: 1-line block ×3, first 2 shown]
	v_mul_f16_e32 v53, 0x33a8, v82
	v_pk_add_f16 v18, v18, v0
	v_add_f16_e32 v37, v59, v37
	v_pk_fma_f16 v59, 0xbbc43b15, v42, v38 op_sel:[0,0,1] op_sel_hi:[1,1,0] neg_lo:[0,0,1] neg_hi:[0,0,1]
	v_mul_f16_e32 v45, 0xb94e, v62
	v_pk_mul_f16 v60, 0xb94e3b7b, v60
	v_perm_b32 v7, v7, v72, 0x5040100
	v_pk_add_f16 v20, v47, v20
	v_pk_add_f16 v1, v6, v1
	v_fmac_f16_e32 v75, 0xb5ac, v64
	v_mul_f16_e32 v46, 0x394e, v82
	v_add_f16_e32 v36, v36, v9
	v_add_f16_e32 v26, v52, v26
	;; [unrolled: 1-line block ×3, first 2 shown]
	v_fmamk_f16 v61, v89, 0xbbc4, v53
	v_fma_f16 v53, v89, 0xbbc4, -v53
	v_pk_add_f16 v18, v59, v18
	v_fma_f16 v73, v90, 0xb9fd, -v45
	v_add_f16_e32 v37, v63, v37
	v_pk_fma_f16 v63, 0xb5acb9fd, v64, v60 op_sel:[0,0,1] op_sel_hi:[1,1,0] neg_lo:[0,0,1] neg_hi:[0,0,1]
	v_pk_add_f16 v20, v66, v20
	v_pk_mul_f16 v66, 0x3a953770, v82
	v_alignbit_b32 v21, v88, v2, 16
	v_pk_add_f16 v1, v7, v1
	v_perm_b32 v2, v2, v19, 0x5040100
	v_fmamk_f16 v51, v89, 0xb9fd, v46
	v_fma_f16 v46, v89, 0xb9fd, -v46
	v_mul_f16_e32 v56, 0xbbf1, v85
	v_mul_f16_e32 v52, 0xbbf1, v82
	v_fmac_f16_e32 v48, 0x3b15, v86
	v_add_f16_e32 v36, v58, v36
	v_mul_f16_e32 v85, 0x33a8, v85
	v_mul_f16_e32 v70, 0x3bf1, v62
	v_add_f16_e32 v26, v75, v26
	v_pk_add_f16 v18, v63, v18
	v_lshrrev_b32_e32 v28, 16, v87
	v_pk_fma_f16 v19, 0x3b15388b, v86, v66 op_sel:[0,0,1] op_sel_hi:[1,1,0] neg_lo:[0,0,1] neg_hi:[0,0,1]
	v_pk_add_f16 v20, v21, v20
	v_alignbit_b32 v21, v73, v3, 16
	v_pk_add_f16 v1, v2, v1
	v_perm_b32 v2, v3, v74, 0x5040100
	v_add_f16_e32 v3, v53, v43
	v_pk_mul_f16 v43, 0xbb7bba95, v91
	v_fma_f16 v57, v86, 0x2fb7, -v56
	v_fmamk_f16 v58, v89, 0x2fb7, v52
	v_fma_f16 v54, v86, 0xbbc4, -v85
	v_fmac_f16_e32 v85, 0xbbc4, v86
	v_fma_f16 v78, v90, 0x2fb7, -v70
	v_fmac_f16_e32 v70, 0x2fb7, v90
	v_add_f16_e32 v36, v80, v36
	v_add_f16_e32 v25, v51, v25
	;; [unrolled: 1-line block ×3, first 2 shown]
	v_mul_f16_e32 v46, 0xb3a8, v28
	v_lshrrev_b32_e32 v51, 16, v50
	v_add_f16_e32 v26, v48, v26
	v_mul_f16_e32 v48, 0xb3a8, v87
	v_pk_mul_f16 v22, 0xbbc43b15, v42
	v_pk_add_f16 v18, v19, v18
	v_pk_add_f16 v20, v21, v20
	v_pk_fma_f16 v21, 0x388bb5ac, v90, v43 op_sel:[0,0,1] op_sel_hi:[1,1,0] neg_lo:[0,0,1] neg_hi:[0,0,1]
	v_fmac_f16_e32 v76, 0x3b15, v64
	v_mul_f16_e32 v59, 0x3a95, v82
	v_fmac_f16_e32 v45, 0xb9fd, v90
	v_add_f16_e32 v35, v57, v35
	v_fma_f16 v57, v50, 0xbbc4, -v46
	v_add_f16_e32 v36, v58, v36
	v_fmamk_f16 v58, v51, 0xbbc4, v48
	v_pk_mul_f16 v42, 0xb5acb9fd, v64
	v_add_f16_e32 v7, v85, v37
	v_add_f16_e32 v37, v70, v23
	v_pk_add_f16 v18, v21, v18
	v_lshrrev_b32_e32 v21, 16, v22
	v_lshrrev_b32_e32 v23, 16, v92
	v_fmac_f16_e32 v56, 0x2fb7, v86
	v_fma_f16 v52, v89, 0x2fb7, -v52
	v_mul_f16_e32 v65, 0x388b, v89
	v_fma_f16 v89, v89, 0x388b, -v59
	v_add_f16_e32 v29, v76, v29
	v_fmac_f16_e32 v46, 0xbbc4, v50
	v_pk_mul_f16 v64, 0x3b15388b, v86
	v_pk_add_f16 v1, v2, v1
	v_add_f16_e32 v2, v45, v27
	v_add_f16_e32 v27, v79, v25
	v_alignbit_b32 v25, v57, v12, 16
	v_perm_b32 v12, v12, v58, 0x5040100
	v_add_f16_e32 v45, v38, v21
	v_add_f16_e32 v9, v23, v9
	v_lshrrev_b32_e32 v53, 16, v42
	v_add_f16_e32 v39, v83, v39
	v_add_f16_e32 v29, v56, v29
	v_mul_f16_e32 v56, 0x3770, v28
	v_add_f16_e32 v30, v52, v30
	v_mul_f16_e32 v52, 0x3770, v87
	v_add_f16_e32 v19, v89, v41
	v_pk_mul_f16 v41, 0x388bb5ac, v90
	v_pk_add_f16 v23, v25, v20
	v_pk_add_f16 v25, v12, v1
	v_add_f16_e32 v21, v46, v2
	v_add_f16_e32 v1, v45, v9
	;; [unrolled: 1-line block ×3, first 2 shown]
	v_lshrrev_b32_e32 v9, 16, v64
	v_fma_f16 v48, v51, 0xbbc4, -v48
	v_add_f16_e32 v39, v54, v39
	v_fma_f16 v54, v50, 0x3b15, -v56
	v_fmamk_f16 v72, v51, 0x3b15, v52
	v_add_f16_e32 v8, v68, v8
	v_add_f16_e32 v24, v78, v24
	;; [unrolled: 1-line block ×4, first 2 shown]
	v_lshrrev_b32_e32 v9, 16, v41
	v_pk_mul_f16 v12, 0xb9fd2fb7, v50
	v_mul_f16_e32 v75, 0xba95, v62
	v_add_f16_e32 v58, v48, v8
	v_add_f16_e32 v8, v54, v24
	;; [unrolled: 1-line block ×3, first 2 shown]
	v_pk_mul_f16 v27, 0x3bf1b94e, v87
	v_add_f16_e32 v1, v2, v1
	v_add_f16_e32 v2, v43, v9
	v_lshrrev_b32_e32 v9, 16, v12
	v_pack_b32_f16 v14, v14, v92
	v_perm_b32 v15, v0, v15, 0x5040100
	v_pack_b32_f16 v13, v13, v22
	v_perm_b32 v0, v38, v0, 0x7060302
	v_fma_f16 v80, v90, 0x388b, -v75
	v_mul_f16_e32 v69, 0xb94e, v28
	v_fma_f16 v52, v51, 0x3b15, -v52
	v_add_f16_e32 v31, v71, v31
	v_add_f16_e32 v1, v2, v1
	;; [unrolled: 1-line block ×3, first 2 shown]
	v_pk_add_f16 v14, v14, v15
	v_pk_add_f16 v0, v13, v0
	v_pack_b32_f16 v10, v10, v42
	v_bfi_b32 v11, 0xffff, v11, v60
	v_fma_f16 v94, v50, 0xb9fd, -v69
	v_add_f16_e32 v32, v80, v32
	v_add_f16_e32 v22, v52, v31
	;; [unrolled: 1-line block ×3, first 2 shown]
	v_pk_add_f16 v0, v0, v14
	v_pk_add_f16 v1, v10, v11
	v_pack_b32_f16 v2, v59, v64
	v_bfi_b32 v11, 0xffff, v65, v66
	s_load_b64 s[2:3], s[0:1], 0x8
	v_mul_f16_e32 v76, 0x33a8, v62
	v_mul_f16_e32 v62, 0x3770, v62
	v_add_f16_e32 v9, v94, v32
	v_pk_add_f16 v0, v1, v0
	v_pk_add_f16 v1, v2, v11
	v_pack_b32_f16 v2, v44, v41
	v_bfi_b32 v11, 0xffff, v93, v43
	v_mul_f16_e32 v15, 0x3bf1, v87
	v_mul_f16_e32 v32, 0x2fb7, v51
	v_fmac_f16_e32 v75, 0x388b, v90
	v_fma_f16 v83, v90, 0xbbc4, -v76
	v_fmac_f16_e32 v76, 0xbbc4, v90
	v_fma_f16 v63, v90, 0x3b15, -v62
	v_fmac_f16_e32 v62, 0x3b15, v90
	v_add_f16_e32 v17, v61, v40
	v_mul_f16_e32 v40, 0x3a95, v28
	v_mul_f16_e32 v4, 0x3a95, v87
	;; [unrolled: 1-line block ×4, first 2 shown]
	v_pk_add_f16 v0, v1, v0
	v_pk_add_f16 v1, v2, v11
	v_pack_b32_f16 v2, v15, v12
	v_bfi_b32 v12, 0xffff, v32, v27
	v_fmac_f16_e32 v56, 0x3b15, v50
	v_fmac_f16_e32 v69, 0xb9fd, v50
	v_fma_f16 v49, v50, 0x388b, -v40
	v_fmamk_f16 v61, v51, 0x388b, v4
	v_fmac_f16_e32 v40, 0x388b, v50
	v_fma_f16 v4, v51, 0x388b, -v4
	v_fma_f16 v47, v50, 0xb5ac, -v28
	v_fmamk_f16 v6, v51, 0xb5ac, v5
	v_fmac_f16_e32 v28, 0xb5ac, v50
	v_fma_f16 v5, v51, 0xb5ac, -v5
	v_add_f16_e32 v26, v75, v26
	v_add_f16_e32 v35, v83, v35
	v_add_f16_e32 v36, v84, v36
	v_add_f16_e32 v29, v76, v29
	v_add_f16_e32 v30, v77, v30
	v_add_f16_e32 v39, v63, v39
	v_add_f16_e32 v17, v67, v17
	v_add_f16_e32 v7, v62, v7
	v_add_f16_e32 v3, v81, v3
	v_add_f16_e32 v19, v55, v19
	v_pk_fma_f16 v14, 0xb9fd2fb7, v50, v27 op_sel:[0,0,1] op_sel_hi:[1,1,0] neg_lo:[0,0,1] neg_hi:[0,0,1]
	v_pk_add_f16 v0, v1, v0
	v_pk_add_f16 v1, v2, v12
	v_fma_f16 v2, v51, 0x2fb7, -v15
	v_add_f16_e32 v20, v56, v37
	v_add_f16_e32 v26, v69, v26
	;; [unrolled: 1-line block ×10, first 2 shown]
	v_pk_add_f16 v56, v14, v18
	v_pk_add_f16 v55, v1, v0
	v_add_f16_e32 v54, v2, v19
	v_mul_lo_u16 v39, v34, 13
	global_wb scope:SCOPE_SE
	s_wait_kmcnt 0x0
	s_barrier_signal -1
	s_barrier_wait -1
	global_inv scope:SCOPE_SE
	s_and_saveexec_b32 s4, vcc_lo
	s_cbranch_execz .LBB0_7
; %bb.6:
	v_and_b32_e32 v0, 0xffff, v39
	v_alignbit_b32 v1, v25, v23, 16
	v_alignbit_b32 v2, v23, v25, 16
	v_perm_b32 v3, v31, v9, 0x5040100
	v_perm_b32 v4, v24, v8, 0x5040100
	v_lshlrev_b32_e32 v0, 2, v0
	v_perm_b32 v5, v53, v11, 0x5040100
	v_perm_b32 v6, v36, v10, 0x5040100
	v_perm_b32 v7, v55, v56, 0x5040100
	v_alignbit_b32 v14, v54, v55, 16
	v_perm_b32 v15, v59, v13, 0x5040100
	v_perm_b32 v17, v64, v12, 0x5040100
	;; [unrolled: 1-line block ×3, first 2 shown]
	v_bfi_b32 v19, 0xffff, v26, v56
	v_perm_b32 v27, v58, v21, 0x5040100
	ds_store_2addr_b32 v0, v2, v1 offset1:1
	ds_store_2addr_b32 v0, v4, v3 offset0:2 offset1:3
	ds_store_2addr_b32 v0, v6, v5 offset0:4 offset1:5
	;; [unrolled: 1-line block ×5, first 2 shown]
	ds_store_b32 v0, v27 offset:48
.LBB0_7:
	s_wait_alu 0xfffe
	s_or_b32 exec_lo, exec_lo, s4
	s_load_b64 s[4:5], s[0:1], 0x20
	v_cmp_gt_u16_e64 s0, 0x82, v34
	v_lshrrev_b32_e32 v15, 16, v23
	v_lshrrev_b32_e32 v19, 16, v55
	global_wb scope:SCOPE_SE
	s_wait_dscnt 0x0
	s_wait_kmcnt 0x0
	s_barrier_signal -1
	s_barrier_wait -1
	global_inv scope:SCOPE_SE
	s_and_saveexec_b32 s1, s0
	s_cbranch_execz .LBB0_9
; %bb.8:
	v_add_nc_u32_e32 v0, 0x400, v33
	v_add_nc_u32_e32 v1, 0x800, v33
	;; [unrolled: 1-line block ×3, first 2 shown]
	ds_load_2addr_b32 v[14:15], v33 offset1:130
	ds_load_2addr_b32 v[8:9], v0 offset0:4 offset1:134
	v_add_nc_u32_e32 v0, 0x1000, v33
	ds_load_2addr_b32 v[10:11], v1 offset0:8 offset1:138
	ds_load_2addr_b32 v[18:19], v2 offset0:12 offset1:142
	;; [unrolled: 1-line block ×3, first 2 shown]
	ds_load_b32 v26, v33 offset:5200
	s_wait_dscnt 0x5
	v_lshrrev_b32_e32 v23, 16, v14
	v_alignbit_b32 v25, v14, v15, 16
	s_wait_dscnt 0x4
	v_lshrrev_b32_e32 v24, 16, v8
	v_lshrrev_b32_e32 v31, 16, v9
	s_wait_dscnt 0x3
	v_lshrrev_b32_e32 v36, 16, v10
	v_lshrrev_b32_e32 v53, 16, v11
	;; [unrolled: 3-line block ×4, first 2 shown]
	s_wait_dscnt 0x0
	v_bfi_b32 v56, 0xffff, v18, v26
.LBB0_9:
	s_wait_alu 0xfffe
	s_or_b32 exec_lo, exec_lo, s1
	v_and_b32_e32 v0, 0xff, v34
	s_delay_alu instid0(VALU_DEP_2) | instskip(NEXT) | instid1(VALU_DEP_2)
	v_lshrrev_b32_e32 v65, 16, v56
	v_mul_lo_u16 v0, 0x4f, v0
	s_delay_alu instid0(VALU_DEP_1) | instskip(NEXT) | instid1(VALU_DEP_1)
	v_lshrrev_b16 v84, 10, v0
	v_mul_lo_u16 v0, v84, 13
	s_delay_alu instid0(VALU_DEP_1) | instskip(NEXT) | instid1(VALU_DEP_1)
	v_sub_nc_u16 v0, v34, v0
	v_and_b32_e32 v35, 0xff, v0
	s_delay_alu instid0(VALU_DEP_1) | instskip(NEXT) | instid1(VALU_DEP_1)
	v_mul_u32_u24_e32 v0, 10, v35
	v_lshlrev_b32_e32 v14, 2, v0
	s_clause 0x2
	global_load_b128 v[4:7], v14, s[2:3]
	global_load_b128 v[0:3], v14, s[2:3] offset:16
	global_load_b64 v[17:18], v14, s[2:3] offset:32
	v_lshrrev_b32_e32 v14, 16, v25
	global_wb scope:SCOPE_SE
	s_wait_loadcnt 0x0
	s_barrier_signal -1
	s_barrier_wait -1
	global_inv scope:SCOPE_SE
	v_lshrrev_b32_e32 v48, 16, v4
	v_lshrrev_b32_e32 v43, 16, v6
	;; [unrolled: 1-line block ×6, first 2 shown]
	v_mul_f16_e32 v57, v25, v48
	v_mul_f16_e32 v52, v15, v48
	;; [unrolled: 1-line block ×5, first 2 shown]
	v_lshrrev_b32_e32 v38, 16, v1
	v_lshrrev_b32_e32 v41, 16, v2
	;; [unrolled: 1-line block ×3, first 2 shown]
	v_mul_f16_e32 v60, v24, v45
	v_mul_f16_e32 v51, v8, v45
	;; [unrolled: 1-line block ×6, first 2 shown]
	v_fma_f16 v63, v15, v4, -v57
	v_fmac_f16_e32 v52, v25, v4
	v_fmac_f16_e32 v49, v31, v6
	v_fma_f16 v31, v26, v18, -v72
	v_fmac_f16_e32 v27, v65, v18
	v_lshrrev_b32_e32 v40, 16, v7
	v_mul_f16_e32 v67, v53, v37
	v_mul_f16_e32 v32, v56, v38
	v_mul_f16_e32 v69, v54, v41
	v_mul_f16_e32 v30, v19, v41
	v_mul_f16_e32 v70, v64, v44
	v_mul_f16_e32 v29, v12, v44
	v_fma_f16 v62, v8, v5, -v60
	v_fmac_f16_e32 v51, v24, v5
	v_fmac_f16_e32 v42, v53, v0
	v_fma_f16 v53, v13, v17, -v71
	v_fmac_f16_e32 v28, v59, v17
	v_sub_f16_e32 v83, v63, v31
	v_sub_f16_e32 v74, v52, v27
	v_mul_f16_e32 v66, v36, v40
	v_mul_f16_e32 v46, v10, v40
	v_mul_f16_e32 v68, v55, v38
	v_fma_f16 v61, v9, v6, -v61
	v_fmac_f16_e32 v32, v55, v1
	v_fma_f16 v55, v19, v2, -v69
	v_fmac_f16_e32 v30, v54, v2
	;; [unrolled: 2-line block ×3, first 2 shown]
	v_add_f16_e32 v8, v63, v31
	v_add_f16_e32 v26, v52, v27
	v_sub_f16_e32 v76, v62, v53
	v_sub_f16_e32 v75, v51, v28
	v_mul_f16_e32 v69, 0xb853, v74
	v_mul_f16_e32 v73, 0xb853, v83
	v_fma_f16 v60, v10, v7, -v66
	v_fmac_f16_e32 v46, v36, v7
	v_fma_f16 v57, v11, v0, -v67
	v_add_f16_e32 v9, v62, v53
	v_add_f16_e32 v11, v51, v28
	v_sub_f16_e32 v78, v61, v54
	v_sub_f16_e32 v77, v49, v29
	v_mul_f16_e32 v67, 0xbb47, v75
	v_mul_f16_e32 v72, 0xbb47, v76
	v_fmamk_f16 v19, v8, 0x3abb, v69
	v_fma_f16 v36, v26, 0x3abb, -v73
	v_fma_f16 v56, v56, v1, -v68
	v_add_f16_e32 v10, v61, v54
	v_add_f16_e32 v15, v49, v29
	v_sub_f16_e32 v80, v60, v55
	v_sub_f16_e32 v79, v46, v30
	v_mul_f16_e32 v66, 0xbbeb, v77
	v_mul_f16_e32 v70, 0xbbeb, v78
	v_fmamk_f16 v59, v9, 0x36a6, v67
	v_fma_f16 v71, v11, 0x36a6, -v72
	v_add_f16_e32 v19, v14, v19
	v_add_f16_e32 v36, v23, v36
	;; [unrolled: 1-line block ×4, first 2 shown]
	v_sub_f16_e32 v82, v57, v56
	v_sub_f16_e32 v81, v42, v32
	v_mul_f16_e32 v65, 0xba0c, v79
	v_mul_f16_e32 v68, 0xba0c, v80
	v_fmamk_f16 v85, v10, 0xb08e, v66
	v_fma_f16 v86, v15, 0xb08e, -v70
	v_add_f16_e32 v19, v59, v19
	v_add_f16_e32 v36, v71, v36
	;; [unrolled: 1-line block ×4, first 2 shown]
	v_mul_f16_e32 v64, 0xb482, v81
	v_mul_f16_e32 v71, 0xb482, v82
	v_fmamk_f16 v59, v12, 0xb93d, v65
	v_fma_f16 v87, v25, 0xb93d, -v68
	v_add_f16_e32 v19, v85, v19
	v_add_f16_e32 v36, v86, v36
	v_fmamk_f16 v85, v13, 0xbbad, v64
	v_fma_f16 v86, v24, 0xbbad, -v71
	s_delay_alu instid0(VALU_DEP_4) | instskip(NEXT) | instid1(VALU_DEP_4)
	v_add_f16_e32 v19, v59, v19
	v_add_f16_e32 v36, v87, v36
	s_delay_alu instid0(VALU_DEP_2) | instskip(NEXT) | instid1(VALU_DEP_2)
	v_add_f16_e32 v19, v85, v19
	v_add_f16_e32 v59, v86, v36
	v_and_b32_e32 v36, 0xffff, v84
	s_and_saveexec_b32 s1, s0
	s_cbranch_execz .LBB0_11
; %bb.10:
	v_mul_f16_e32 v84, 0xbbad, v26
	v_mul_f16_e32 v87, 0x3abb, v11
	;; [unrolled: 1-line block ×5, first 2 shown]
	v_fmamk_f16 v89, v83, 0x3482, v84
	v_fmamk_f16 v93, v76, 0xb853, v87
	v_mul_f16_e32 v94, 0x3853, v75
	v_fmamk_f16 v96, v78, 0x3a0c, v88
	v_fmamk_f16 v97, v8, 0xbbad, v92
	v_add_f16_e32 v89, v23, v89
	v_fmac_f16_e32 v84, 0xb482, v83
	v_mul_f16_e32 v95, 0xba0c, v77
	v_fmamk_f16 v99, v9, 0x3abb, v94
	v_add_f16_e32 v97, v14, v97
	v_add_f16_e32 v89, v93, v89
	v_fmamk_f16 v93, v80, 0xbb47, v90
	v_fmac_f16_e32 v87, 0x3853, v76
	v_add_f16_e32 v84, v23, v84
	v_add_f16_e32 v97, v99, v97
	;; [unrolled: 1-line block ×3, first 2 shown]
	v_fmamk_f16 v96, v10, 0xb93d, v95
	v_fma_f16 v92, v8, 0xbbad, -v92
	v_add_f16_e32 v84, v87, v84
	v_fmac_f16_e32 v88, 0xba0c, v78
	v_add_f16_e32 v89, v93, v89
	v_mul_f16_e32 v93, 0x3b47, v79
	v_add_f16_e32 v96, v96, v97
	v_add_f16_e32 v92, v14, v92
	v_fma_f16 v94, v9, 0x3abb, -v94
	v_mul_f16_e32 v97, 0xbbeb, v81
	v_fmamk_f16 v87, v12, 0x36a6, v93
	v_add_f16_e32 v84, v88, v84
	v_fmac_f16_e32 v90, 0x3b47, v80
	v_add_f16_e32 v88, v94, v92
	v_fma_f16 v92, v10, 0xb93d, -v95
	v_add_f16_e32 v87, v87, v96
	v_fmamk_f16 v94, v13, 0xb08e, v97
	v_add_f16_e32 v84, v90, v84
	v_mul_f16_e32 v90, 0xba0c, v83
	v_mul_f16_e32 v91, 0xb08e, v24
	v_add_f16_e32 v88, v92, v88
	v_fma_f16 v92, v12, 0x36a6, -v93
	v_add_f16_e32 v87, v94, v87
	v_fmamk_f16 v93, v26, 0xb93d, v90
	v_mul_f16_e32 v94, 0x3beb, v76
	v_fmamk_f16 v98, v82, 0x3beb, v91
	v_fmac_f16_e32 v91, 0xbbeb, v82
	v_add_f16_e32 v88, v92, v88
	v_add_f16_e32 v92, v23, v93
	v_fmamk_f16 v93, v11, 0xb08e, v94
	v_mul_f16_e32 v95, 0xb853, v78
	v_add_f16_e32 v84, v91, v84
	v_mul_f16_e32 v91, 0xba0c, v74
	v_mul_f16_e32 v99, 0xb482, v80
	v_add_f16_e32 v92, v93, v92
	v_fmamk_f16 v93, v15, 0x3abb, v95
	v_add_f16_e32 v89, v98, v89
	v_fma_f16 v96, v13, 0xb08e, -v97
	v_fma_f16 v97, v8, 0xb93d, -v91
	v_mul_f16_e32 v98, 0x3beb, v75
	v_add_f16_e32 v92, v93, v92
	v_fmamk_f16 v93, v25, 0xbbad, v99
	v_mul_f16_e32 v102, 0x3b47, v82
	v_add_f16_e32 v97, v14, v97
	v_fma_f16 v100, v9, 0xb08e, -v98
	v_mul_f16_e32 v101, 0xb853, v77
	v_add_f16_e32 v92, v93, v92
	v_fmamk_f16 v93, v24, 0x36a6, v102
	v_mul_f16_e32 v104, 0xbbeb, v83
	v_add_f16_e32 v97, v100, v97
	v_fma_f16 v100, v10, 0x3abb, -v101
	v_mul_f16_e32 v103, 0xb482, v79
	v_mul_f16_e32 v105, 0xbbeb, v74
	v_add_f16_e32 v88, v96, v88
	v_add_f16_e32 v92, v93, v92
	v_fmamk_f16 v93, v26, 0xb08e, v104
	v_mul_f16_e32 v96, 0x3482, v76
	v_add_f16_e32 v97, v100, v97
	v_fma_f16 v100, v12, 0xbbad, -v103
	v_fma_f16 v109, v8, 0xb08e, -v105
	v_mul_f16_e32 v110, 0x3482, v75
	v_add_f16_e32 v93, v23, v93
	v_fmamk_f16 v106, v11, 0xbbad, v96
	v_mul_f16_e32 v107, 0x3b47, v78
	v_add_f16_e32 v97, v100, v97
	v_mul_f16_e32 v100, 0x3b47, v81
	v_add_f16_e32 v109, v14, v109
	v_fma_f16 v112, v9, 0xbbad, -v110
	v_mul_f16_e32 v113, 0x3b47, v77
	v_add_f16_e32 v93, v106, v93
	v_fmamk_f16 v106, v15, 0x36a6, v107
	v_mul_f16_e32 v111, 0xb853, v80
	v_mul_f16_e32 v74, 0xbb47, v74
	v_add_f16_e32 v52, v23, v52
	v_fma_f16 v108, v13, 0x36a6, -v100
	v_add_f16_e32 v109, v112, v109
	v_fma_f16 v112, v10, 0x36a6, -v113
	v_mul_f16_e32 v115, 0xb853, v79
	v_add_f16_e32 v93, v106, v93
	v_fmamk_f16 v106, v25, 0x3abb, v111
	v_mul_f16_e32 v114, 0xba0c, v82
	v_fma_f16 v116, v8, 0x36a6, -v74
	v_mul_f16_e32 v75, 0xba0c, v75
	v_add_f16_e32 v51, v52, v51
	v_add_f16_e32 v97, v108, v97
	;; [unrolled: 1-line block ×3, first 2 shown]
	v_fma_f16 v109, v12, 0x3abb, -v115
	v_mul_f16_e32 v83, 0xbb47, v83
	v_add_f16_e32 v93, v106, v93
	v_fmamk_f16 v106, v24, 0xb93d, v114
	v_add_f16_e32 v116, v14, v116
	v_fma_f16 v118, v9, 0xb93d, -v75
	v_mul_f16_e32 v77, 0x3482, v77
	v_add_f16_e32 v49, v51, v49
	v_add_f16_e32 v108, v109, v108
	v_fmamk_f16 v109, v26, 0x36a6, v83
	v_mul_f16_e32 v76, 0xba0c, v76
	v_add_f16_e32 v93, v106, v93
	v_mul_f16_e32 v106, 0xba0c, v81
	v_add_f16_e32 v116, v118, v116
	v_fma_f16 v118, v10, 0xbbad, -v77
	v_mul_f16_e32 v79, 0x3beb, v79
	v_add_f16_e32 v63, v14, v63
	v_add_f16_e32 v46, v49, v46
	;; [unrolled: 1-line block ×3, first 2 shown]
	v_fmamk_f16 v117, v11, 0xb93d, v76
	v_mul_f16_e32 v78, 0x3482, v78
	v_mul_f16_e32 v85, 0x3abb, v8
	v_fma_f16 v112, v13, 0xb93d, -v106
	v_add_f16_e32 v116, v118, v116
	v_fma_f16 v118, v12, 0xb08e, -v79
	v_mul_f16_e32 v81, 0x3853, v81
	v_add_f16_e32 v62, v63, v62
	v_add_f16_e32 v42, v46, v42
	v_add_f16_e32 v109, v117, v109
	v_fmamk_f16 v117, v15, 0xbbad, v78
	v_mul_f16_e32 v80, 0x3beb, v80
	v_add_f16_e32 v108, v112, v108
	v_add_f16_e32 v112, v118, v116
	v_fma_f16 v116, v13, 0x3abb, -v81
	v_mul_f16_e32 v118, 0x36a6, v9
	v_add_f16_e32 v61, v62, v61
	v_sub_f16_e32 v69, v85, v69
	v_add_f16_e32 v32, v42, v32
	v_add_f16_e32 v109, v117, v109
	v_fmamk_f16 v117, v25, 0xb08e, v80
	v_mul_f16_e32 v82, 0x3853, v82
	v_add_f16_e32 v112, v116, v112
	v_mul_f16_e32 v116, 0xb08e, v10
	v_add_f16_e32 v60, v61, v60
	v_add_f16_e32 v61, v14, v69
	v_sub_f16_e32 v67, v118, v67
	v_add_f16_e32 v30, v32, v30
	v_mul_f16_e32 v86, 0x3abb, v26
	v_add_f16_e32 v109, v117, v109
	v_fmamk_f16 v117, v24, 0x3abb, v82
	v_mul_f16_e32 v63, 0xb93d, v12
	v_add_f16_e32 v57, v60, v57
	v_add_f16_e32 v60, v67, v61
	v_sub_f16_e32 v46, v116, v66
	v_add_f16_e32 v29, v30, v29
	v_add_f16_e32 v109, v117, v109
	v_mul_f16_e32 v117, 0x36a6, v11
	v_add_f16_e32 v73, v73, v86
	v_mul_f16_e32 v62, 0xbbad, v13
	v_add_f16_e32 v42, v46, v60
	v_sub_f16_e32 v46, v63, v65
	v_add_f16_e32 v28, v29, v28
	v_mul_f16_e32 v86, 0xb08e, v15
	v_add_f16_e32 v72, v72, v117
	v_add_f16_e32 v73, v23, v73
	v_fma_f16 v32, v26, 0xb93d, -v90
	v_add_f16_e32 v42, v46, v42
	v_sub_f16_e32 v46, v62, v64
	v_add_f16_e32 v27, v28, v27
	v_fma_f16 v28, v26, 0xb08e, -v104
	v_mul_f16_e32 v117, 0xb93d, v25
	v_add_f16_e32 v72, v72, v73
	v_add_f16_e32 v51, v70, v86
	;; [unrolled: 1-line block ×3, first 2 shown]
	v_fma_f16 v32, v11, 0xb08e, -v94
	v_add_f16_e32 v42, v46, v42
	v_fmac_f16_e32 v91, 0xb93d, v8
	v_add_f16_e32 v28, v23, v28
	v_fma_f16 v46, v11, 0xbbad, -v96
	v_mul_f16_e32 v52, 0xbbad, v24
	v_add_f16_e32 v49, v51, v72
	v_add_f16_e32 v51, v68, v117
	;; [unrolled: 1-line block ×4, first 2 shown]
	v_fma_f16 v30, v15, 0x3abb, -v95
	v_add_f16_e32 v32, v14, v91
	v_fmac_f16_e32 v98, 0xb08e, v9
	v_add_f16_e32 v28, v46, v28
	v_fma_f16 v46, v15, 0x36a6, -v107
	v_fmac_f16_e32 v105, 0xb08e, v8
	v_fma_f16 v26, v26, 0x36a6, -v83
	v_fmac_f16_e32 v74, 0x36a6, v8
	v_add_f16_e32 v49, v51, v49
	v_add_f16_e32 v51, v71, v52
	v_add_f16_e32 v52, v56, v55
	v_add_f16_e32 v29, v30, v29
	v_fma_f16 v30, v25, 0xbbad, -v99
	v_add_f16_e32 v32, v98, v32
	v_fmac_f16_e32 v101, 0x3abb, v10
	v_add_f16_e32 v28, v46, v28
	v_add_f16_e32 v46, v14, v105
	v_fmac_f16_e32 v110, 0xbbad, v9
	v_add_f16_e32 v23, v23, v26
	v_fma_f16 v11, v11, 0xb93d, -v76
	v_add_f16_e32 v14, v14, v74
	v_fmac_f16_e32 v75, 0xb93d, v9
	v_add_f16_e32 v49, v51, v49
	v_add_f16_e32 v51, v52, v54
	;; [unrolled: 1-line block ×3, first 2 shown]
	v_fma_f16 v30, v24, 0x36a6, -v102
	v_add_f16_e32 v32, v101, v32
	v_fmac_f16_e32 v103, 0xbbad, v12
	v_add_f16_e32 v8, v110, v46
	v_fmac_f16_e32 v113, 0x36a6, v10
	v_add_f16_e32 v9, v11, v23
	v_fma_f16 v11, v15, 0xbbad, -v78
	v_add_f16_e32 v14, v75, v14
	v_fmac_f16_e32 v77, 0xbbad, v10
	v_add_f16_e32 v51, v51, v53
	v_add_f16_e32 v29, v30, v29
	;; [unrolled: 1-line block ×3, first 2 shown]
	v_fma_f16 v32, v25, 0x3abb, -v111
	v_add_f16_e32 v8, v113, v8
	v_fmac_f16_e32 v115, 0x3abb, v12
	v_add_f16_e32 v9, v11, v9
	v_fma_f16 v11, v25, 0xb08e, -v80
	v_add_f16_e32 v14, v77, v14
	v_fmac_f16_e32 v79, 0xb08e, v12
	v_add_f16_e32 v31, v51, v31
	v_mul_u32_u24_e32 v12, 0x8f, v36
	v_fmac_f16_e32 v100, 0x36a6, v13
	v_add_f16_e32 v28, v32, v28
	v_fma_f16 v10, v24, 0xb93d, -v114
	v_add_f16_e32 v8, v115, v8
	v_fmac_f16_e32 v106, 0xb93d, v13
	v_add_f16_e32 v9, v11, v9
	v_fma_f16 v11, v24, 0x3abb, -v82
	v_add_f16_e32 v14, v79, v14
	v_fmac_f16_e32 v81, 0x3abb, v13
	v_add_lshl_u32 v12, v12, v35, 2
	v_pack_b32_f16 v13, v31, v27
	v_pack_b32_f16 v15, v42, v49
	v_add_f16_e32 v30, v100, v30
	v_add_f16_e32 v10, v10, v28
	;; [unrolled: 1-line block ×5, first 2 shown]
	ds_store_2addr_b32 v12, v13, v15 offset1:13
	v_pack_b32_f16 v13, v112, v109
	v_pack_b32_f16 v14, v108, v93
	;; [unrolled: 1-line block ×8, first 2 shown]
	v_perm_b32 v10, v59, v19, 0x5040100
	ds_store_2addr_b32 v12, v13, v14 offset0:26 offset1:39
	ds_store_2addr_b32 v12, v15, v23 offset0:52 offset1:65
	;; [unrolled: 1-line block ×4, first 2 shown]
	ds_store_b32 v12, v10 offset:520
.LBB0_11:
	s_wait_alu 0xfffe
	s_or_b32 exec_lo, exec_lo, s1
	v_mad_co_u64_u32 v[23:24], null, v34, 36, s[2:3]
	s_load_b128 s[4:7], s[4:5], 0x0
	global_wb scope:SCOPE_SE
	s_wait_dscnt 0x0
	s_wait_kmcnt 0x0
	s_barrier_signal -1
	s_barrier_wait -1
	global_inv scope:SCOPE_SE
	v_add_nc_u32_e32 v67, 0x400, v33
	s_clause 0x2
	global_load_b128 v[12:15], v[23:24], off offset:520
	global_load_b128 v[8:11], v[23:24], off offset:536
	global_load_b32 v42, v[23:24], off offset:552
	v_add_nc_u32_e32 v68, 0x800, v33
	v_add_nc_u32_e32 v69, 0xc00, v33
	;; [unrolled: 1-line block ×3, first 2 shown]
	ds_load_2addr_b32 v[29:30], v33 offset1:143
	ds_load_2addr_b32 v[23:24], v67 offset0:30 offset1:173
	ds_load_2addr_b32 v[25:26], v68 offset0:60 offset1:203
	;; [unrolled: 1-line block ×4, first 2 shown]
	s_wait_dscnt 0x2
	v_lshrrev_b32_e32 v63, 16, v25
	v_lshrrev_b32_e32 v60, 16, v30
	;; [unrolled: 1-line block ×5, first 2 shown]
	s_wait_dscnt 0x1
	v_lshrrev_b32_e32 v66, 16, v27
	v_lshrrev_b32_e32 v70, 16, v28
	s_wait_dscnt 0x0
	v_lshrrev_b32_e32 v71, 16, v31
	v_lshrrev_b32_e32 v73, 16, v32
	v_lshrrev_b32_e32 v64, 16, v29
	s_wait_loadcnt 0x2
	v_lshrrev_b32_e32 v57, 16, v12
	v_lshrrev_b32_e32 v55, 16, v13
	v_lshrrev_b32_e32 v56, 16, v14
	v_lshrrev_b32_e32 v54, 16, v15
	s_wait_loadcnt 0x1
	v_lshrrev_b32_e32 v53, 16, v8
	;; [unrolled: 5-line block ×3, first 2 shown]
	v_mul_f16_e32 v74, v60, v57
	v_mul_f16_e32 v75, v30, v57
	;; [unrolled: 1-line block ×18, first 2 shown]
	v_fma_f16 v30, v30, v12, -v74
	v_fmac_f16_e32 v75, v60, v12
	v_fma_f16 v23, v23, v13, -v76
	v_fmac_f16_e32 v77, v61, v13
	v_fma_f16 v24, v24, v14, -v78
	v_fmac_f16_e32 v79, v62, v14
	v_fma_f16 v25, v25, v15, -v80
	v_fmac_f16_e32 v81, v63, v15
	v_fma_f16 v26, v26, v8, -v82
	v_fmac_f16_e32 v83, v65, v8
	v_fma_f16 v27, v27, v9, -v84
	v_fmac_f16_e32 v85, v66, v9
	v_fma_f16 v28, v28, v10, -v86
	v_fmac_f16_e32 v87, v70, v10
	v_fma_f16 v31, v31, v11, -v88
	v_fmac_f16_e32 v89, v71, v11
	v_fma_f16 v32, v32, v42, -v90
	v_fmac_f16_e32 v91, v73, v42
	v_add_f16_e32 v60, v29, v23
	v_add_f16_e32 v61, v25, v27
	v_sub_f16_e32 v65, v23, v25
	v_sub_f16_e32 v66, v31, v27
	v_add_f16_e32 v70, v23, v31
	v_add_f16_e32 v74, v64, v77
	v_sub_f16_e32 v80, v77, v81
	v_sub_f16_e32 v82, v89, v85
	v_add_f16_e32 v88, v30, v24
	v_add_f16_e32 v90, v26, v28
	;; [unrolled: 1-line block ×6, first 2 shown]
	v_sub_f16_e32 v62, v77, v89
	v_sub_f16_e32 v63, v81, v85
	;; [unrolled: 1-line block ×4, first 2 shown]
	v_add_f16_e32 v76, v81, v85
	v_sub_f16_e32 v78, v25, v27
	v_add_f16_e32 v84, v77, v89
	v_sub_f16_e32 v77, v81, v77
	v_sub_f16_e32 v86, v85, v89
	;; [unrolled: 1-line block ×7, first 2 shown]
	v_add_f16_e32 v25, v60, v25
	v_fma_f16 v61, -0.5, v61, v29
	v_add_f16_e32 v60, v65, v66
	v_fmac_f16_e32 v29, -0.5, v70
	v_add_f16_e32 v66, v74, v81
	v_add_f16_e32 v70, v80, v82
	;; [unrolled: 1-line block ×3, first 2 shown]
	v_fma_f16 v74, -0.5, v90, v30
	v_add_f16_e32 v80, v99, v83
	v_fma_f16 v81, -0.5, v100, v75
	v_sub_f16_e32 v93, v83, v87
	v_fmac_f16_e32 v30, -0.5, v96
	v_fmac_f16_e32 v75, -0.5, v104
	v_sub_f16_e32 v95, v32, v28
	v_sub_f16_e32 v98, v28, v32
	;; [unrolled: 1-line block ×4, first 2 shown]
	v_add_f16_e32 v65, v71, v73
	v_add_f16_e32 v71, v77, v86
	;; [unrolled: 1-line block ×3, first 2 shown]
	v_fmamk_f16 v86, v92, 0x3b9c, v74
	v_add_f16_e32 v28, v80, v87
	v_fmamk_f16 v80, v24, 0xbb9c, v81
	v_sub_f16_e32 v79, v83, v79
	v_sub_f16_e32 v105, v87, v91
	v_fmamk_f16 v88, v93, 0xbb9c, v30
	v_fmac_f16_e32 v30, 0x3b9c, v93
	v_fmamk_f16 v87, v101, 0x3b9c, v75
	v_fmac_f16_e32 v75, 0xbb9c, v101
	v_fmac_f16_e32 v74, 0xbb9c, v92
	;; [unrolled: 1-line block ×3, first 2 shown]
	v_sub_f16_e32 v23, v23, v31
	v_fma_f16 v73, -0.5, v76, v64
	v_fmac_f16_e32 v64, -0.5, v84
	v_add_f16_e32 v76, v94, v95
	v_add_f16_e32 v82, v102, v103
	v_add_f16_e32 v25, v25, v27
	v_fmac_f16_e32 v86, 0x38b4, v93
	v_fmac_f16_e32 v80, 0xb8b4, v101
	v_add_f16_e32 v77, v97, v98
	v_add_f16_e32 v79, v79, v105
	v_fmamk_f16 v83, v62, 0x3b9c, v61
	v_fmac_f16_e32 v61, 0xbb9c, v62
	v_add_f16_e32 v27, v66, v85
	v_fmac_f16_e32 v88, 0x38b4, v92
	v_fmac_f16_e32 v30, 0xb8b4, v92
	;; [unrolled: 1-line block ×6, first 2 shown]
	v_fmamk_f16 v84, v63, 0xbb9c, v29
	v_fmac_f16_e32 v29, 0x3b9c, v63
	v_fmamk_f16 v66, v23, 0xbb9c, v73
	v_fmamk_f16 v85, v78, 0x3b9c, v64
	v_fmac_f16_e32 v64, 0xbb9c, v78
	v_add_f16_e32 v25, v25, v31
	v_add_f16_e32 v26, v26, v32
	v_fmac_f16_e32 v86, 0x34f2, v76
	v_fmac_f16_e32 v80, 0x34f2, v82
	;; [unrolled: 1-line block ×4, first 2 shown]
	v_add_f16_e32 v27, v27, v89
	v_add_f16_e32 v31, v28, v91
	v_fmac_f16_e32 v88, 0x34f2, v77
	v_fmac_f16_e32 v30, 0x34f2, v77
	;; [unrolled: 1-line block ×12, first 2 shown]
	v_add_f16_e32 v23, v25, v26
	v_sub_f16_e32 v28, v25, v26
	v_mul_f16_e32 v25, 0x38b4, v80
	v_mul_f16_e32 v62, 0xb8b4, v86
	v_fmac_f16_e32 v83, 0x34f2, v60
	v_fmac_f16_e32 v61, 0x34f2, v60
	v_add_f16_e32 v60, v27, v31
	v_sub_f16_e32 v63, v27, v31
	v_mul_f16_e32 v26, 0x3b9c, v87
	v_mul_f16_e32 v24, 0x34f2, v30
	;; [unrolled: 1-line block ×4, first 2 shown]
	v_fmac_f16_e32 v73, 0x38b4, v78
	v_mul_f16_e32 v27, 0x3a79, v74
	v_mul_f16_e32 v32, 0x3a79, v81
	v_fmac_f16_e32 v66, 0x34f2, v70
	v_fmac_f16_e32 v25, 0x3a79, v86
	;; [unrolled: 1-line block ×8, first 2 shown]
	v_fma_f16 v75, v75, 0x3b9c, -v24
	v_fmac_f16_e32 v76, 0x34f2, v87
	v_fma_f16 v80, v30, 0xbb9c, -v31
	v_fmac_f16_e32 v73, 0x34f2, v70
	v_fma_f16 v79, v81, 0x38b4, -v27
	v_fma_f16 v81, v74, 0xb8b4, -v32
	v_add_f16_e32 v24, v83, v25
	v_add_f16_e32 v71, v66, v62
	;; [unrolled: 1-line block ×8, first 2 shown]
	v_sub_f16_e32 v25, v83, v25
	v_sub_f16_e32 v26, v84, v26
	;; [unrolled: 1-line block ×8, first 2 shown]
	v_pack_b32_f16 v77, v23, v60
	v_pack_b32_f16 v73, v24, v71
	;; [unrolled: 1-line block ×10, first 2 shown]
	ds_store_2addr_b32 v33, v77, v73 offset1:143
	ds_store_2addr_b32 v67, v75, v76 offset0:30 offset1:173
	ds_store_2addr_b32 v68, v79, v78 offset0:60 offset1:203
	;; [unrolled: 1-line block ×4, first 2 shown]
	global_wb scope:SCOPE_SE
	s_wait_dscnt 0x0
	s_barrier_signal -1
	s_barrier_wait -1
	global_inv scope:SCOPE_SE
	s_and_saveexec_b32 s1, vcc_lo
	s_cbranch_execz .LBB0_13
; %bb.12:
	global_load_b32 v72, v33, s[20:21] offset:5720
	s_add_nc_u64 s[2:3], s[20:21], 0x1658
	s_clause 0xb
	global_load_b32 v85, v33, s[2:3] offset:440
	global_load_b32 v86, v33, s[2:3] offset:880
	;; [unrolled: 1-line block ×12, first 2 shown]
	ds_load_b32 v73, v33
	v_add_nc_u32_e32 v97, 0xe00, v33
	v_add_nc_u32_e32 v98, 0x1200, v33
	s_wait_dscnt 0x0
	v_lshrrev_b32_e32 v75, 16, v73
	s_wait_loadcnt 0xb
	v_lshrrev_b32_e32 v99, 16, v85
	s_wait_loadcnt 0xa
	;; [unrolled: 2-line block ×8, first 2 shown]
	v_lshrrev_b32_e32 v106, 16, v92
	v_lshrrev_b32_e32 v76, 16, v72
	s_wait_loadcnt 0x3
	v_lshrrev_b32_e32 v107, 16, v93
	s_wait_loadcnt 0x2
	;; [unrolled: 2-line block ×4, first 2 shown]
	v_lshrrev_b32_e32 v110, 16, v96
	v_mul_f16_e32 v77, v75, v76
	v_mul_f16_e32 v76, v73, v76
	s_delay_alu instid0(VALU_DEP_2) | instskip(NEXT) | instid1(VALU_DEP_2)
	v_fma_f16 v73, v73, v72, -v77
	v_fmac_f16_e32 v76, v75, v72
	s_delay_alu instid0(VALU_DEP_1)
	v_pack_b32_f16 v72, v73, v76
	ds_store_b32 v33, v72
	ds_load_2addr_b32 v[72:73], v33 offset0:110 offset1:220
	ds_load_2addr_b32 v[75:76], v67 offset0:74 offset1:184
	;; [unrolled: 1-line block ×6, first 2 shown]
	s_wait_dscnt 0x5
	v_lshrrev_b32_e32 v111, 16, v72
	v_lshrrev_b32_e32 v113, 16, v73
	s_wait_dscnt 0x4
	v_lshrrev_b32_e32 v115, 16, v75
	v_lshrrev_b32_e32 v117, 16, v76
	;; [unrolled: 3-line block ×5, first 2 shown]
	v_mul_f16_e32 v112, v72, v99
	v_mul_f16_e32 v114, v73, v100
	s_wait_dscnt 0x0
	v_lshrrev_b32_e32 v131, 16, v83
	v_lshrrev_b32_e32 v133, 16, v84
	v_mul_f16_e32 v99, v111, v99
	v_mul_f16_e32 v100, v113, v100
	;; [unrolled: 1-line block ×14, first 2 shown]
	v_mul_f16_e64 v128, v81, v107
	v_mul_f16_e64 v130, v82, v108
	v_mul_f16_e32 v107, v127, v107
	v_mul_f16_e64 v108, v129, v108
	v_mul_f16_e64 v132, v83, v109
	;; [unrolled: 1-line block ×3, first 2 shown]
	v_fmac_f16_e32 v112, v111, v85
	v_fmac_f16_e32 v114, v113, v86
	v_mul_f16_e64 v109, v131, v109
	v_mul_f16_e64 v110, v133, v110
	v_fma_f16 v72, v72, v85, -v99
	v_fma_f16 v73, v73, v86, -v100
	v_fmac_f16_e32 v116, v115, v87
	v_fmac_f16_e32 v118, v117, v88
	v_fma_f16 v75, v75, v87, -v101
	v_fma_f16 v76, v76, v88, -v102
	v_fmac_f16_e32 v120, v119, v89
	v_fmac_f16_e32 v122, v121, v90
	;; [unrolled: 4-line block ×3, first 2 shown]
	v_fma_f16 v79, v79, v91, -v105
	v_fma_f16 v80, v80, v92, -v106
	v_fmac_f16_e64 v128, v127, v93
	v_fmac_f16_e64 v130, v129, v94
	v_fma_f16 v81, v81, v93, -v107
	v_fma_f16 v82, v82, v94, -v108
	v_fmac_f16_e64 v132, v131, v95
	v_fmac_f16_e64 v134, v133, v96
	v_fma_f16 v83, v83, v95, -v109
	v_fma_f16 v84, v84, v96, -v110
	v_pack_b32_f16 v72, v72, v112
	v_pack_b32_f16 v73, v73, v114
	;; [unrolled: 1-line block ×12, first 2 shown]
	ds_store_2addr_b32 v33, v72, v73 offset0:110 offset1:220
	ds_store_2addr_b32 v67, v75, v76 offset0:74 offset1:184
	;; [unrolled: 1-line block ×6, first 2 shown]
.LBB0_13:
	s_wait_alu 0xfffe
	s_or_b32 exec_lo, exec_lo, s1
	global_wb scope:SCOPE_SE
	s_wait_dscnt 0x0
	s_barrier_signal -1
	s_barrier_wait -1
	global_inv scope:SCOPE_SE
	s_and_saveexec_b32 s1, vcc_lo
	s_cbranch_execz .LBB0_15
; %bb.14:
	v_add_nc_u32_e32 v19, 0x200, v33
	v_add_nc_u32_e32 v20, 0x600, v33
	;; [unrolled: 1-line block ×3, first 2 shown]
	ds_load_2addr_b32 v[23:24], v33 offset1:110
	ds_load_2addr_b32 v[31:32], v19 offset0:92 offset1:202
	v_add_nc_u32_e32 v19, 0xc00, v33
	ds_load_2addr_b32 v[27:28], v20 offset0:56 offset1:166
	v_add_nc_u32_e32 v20, 0x1000, v33
	ds_load_2addr_b32 v[25:26], v21 offset0:20 offset1:130
	ds_load_2addr_b32 v[29:30], v19 offset0:112 offset1:222
	;; [unrolled: 1-line block ×3, first 2 shown]
	ds_load_b32 v21, v33 offset:5280
	s_wait_dscnt 0x6
	v_lshrrev_b32_e32 v60, 16, v23
	v_lshrrev_b32_e32 v71, 16, v24
	s_wait_dscnt 0x5
	v_lshrrev_b32_e32 v74, 16, v31
	v_lshrrev_b32_e32 v70, 16, v32
	;; [unrolled: 3-line block ×6, first 2 shown]
	s_wait_dscnt 0x0
	v_lshrrev_b32_e32 v58, 16, v21
.LBB0_15:
	s_wait_alu 0xfffe
	s_or_b32 exec_lo, exec_lo, s1
	v_add_f16_e32 v67, v24, v23
	v_add_f16_e32 v68, v71, v60
	v_sub_f16_e32 v75, v71, v58
	v_add_f16_e32 v72, v21, v24
	v_add_f16_e32 v73, v58, v71
	;; [unrolled: 1-line block ×4, first 2 shown]
	v_mul_f16_e32 v82, 0xb94e, v75
	v_sub_f16_e32 v24, v24, v21
	v_mul_f16_e32 v78, 0xbbf1, v75
	v_add_f16_e32 v76, v32, v69
	v_add_f16_e32 v77, v70, v68
	v_mul_f16_e32 v67, 0xb770, v75
	v_mul_f16_e32 v68, 0xb770, v24
	v_fmamk_f16 v87, v72, 0x2fb7, v78
	v_add_f16_e32 v76, v27, v76
	v_add_f16_e32 v77, v65, v77
	v_fma_f16 v78, v72, 0x2fb7, -v78
	v_mul_f16_e32 v69, 0xba95, v75
	v_mul_f16_e32 v80, 0xbb7b, v75
	v_add_f16_e32 v76, v28, v76
	v_add_f16_e32 v77, v63, v77
	;; [unrolled: 1-line block ×3, first 2 shown]
	v_mul_f16_e32 v75, 0xb3a8, v75
	v_mul_f16_e32 v78, 0xbbc4, v73
	v_add_f16_e32 v76, v25, v76
	v_add_f16_e32 v77, v61, v77
	v_sub_f16_e32 v97, v74, v22
	v_mul_f16_e32 v71, 0xba95, v24
	v_mul_f16_e32 v79, 0x2fb7, v73
	v_add_f16_e32 v76, v26, v76
	v_add_f16_e32 v77, v62, v77
	v_mul_f16_e32 v81, 0xb5ac, v73
	v_fmamk_f16 v83, v72, 0x3b15, v67
	v_fma_f16 v84, v73, 0x3b15, -v68
	v_add_f16_e32 v76, v29, v76
	v_add_f16_e32 v77, v64, v77
	v_fmamk_f16 v93, v72, 0xbbc4, v75
	v_fmamk_f16 v94, v24, 0x33a8, v78
	v_fma_f16 v75, v72, 0xbbc4, -v75
	v_add_f16_e32 v76, v30, v76
	v_add_f16_e32 v77, v66, v77
	v_fmac_f16_e32 v78, 0xb3a8, v24
	v_fmamk_f16 v85, v72, 0x388b, v69
	v_fma_f16 v86, v73, 0x388b, -v71
	v_add_f16_e32 v76, v19, v76
	v_add_f16_e32 v77, v59, v77
	v_fmamk_f16 v88, v24, 0x3bf1, v79
	v_fmac_f16_e32 v79, 0xbbf1, v24
	v_fmamk_f16 v90, v24, 0x3b7b, v81
	v_add_f16_e32 v76, v20, v76
	v_add_f16_e32 v77, v22, v77
	;; [unrolled: 1-line block ×4, first 2 shown]
	v_fmac_f16_e32 v81, 0xbb7b, v24
	v_add_f16_e32 v21, v21, v76
	v_add_f16_e32 v58, v58, v77
	v_fmamk_f16 v76, v72, 0xb9fd, v82
	v_mul_f16_e32 v77, 0xb9fd, v73
	v_add_f16_e32 v98, v60, v78
	v_mul_f16_e32 v99, 0xb3a8, v97
	v_add_f16_e32 v85, v23, v85
	v_add_f16_e32 v92, v23, v76
	v_fmamk_f16 v76, v24, 0x394e, v77
	v_fmac_f16_e32 v77, 0xb94e, v24
	v_add_f16_e32 v24, v23, v75
	v_mul_f16_e32 v75, 0xbb7b, v97
	v_add_f16_e32 v86, v60, v86
	v_add_f16_e32 v95, v60, v76
	;; [unrolled: 1-line block ×3, first 2 shown]
	v_sub_f16_e32 v20, v31, v20
	v_add_f16_e32 v96, v60, v77
	v_mul_f16_e32 v31, 0xba95, v97
	v_add_f16_e32 v77, v22, v74
	v_add_f16_e32 v87, v23, v87
	v_mul_f16_e32 v74, 0xba95, v20
	v_mul_f16_e32 v78, 0xbb7b, v20
	v_fmamk_f16 v22, v76, 0x388b, v31
	v_fmamk_f16 v102, v76, 0xbbc4, v99
	v_add_f16_e32 v79, v60, v79
	v_fma_f16 v100, v77, 0x388b, -v74
	v_fma_f16 v101, v77, 0xb5ac, -v78
	v_add_f16_e32 v22, v22, v83
	v_fmamk_f16 v83, v76, 0xb5ac, v75
	v_fma_f16 v99, v76, 0xbbc4, -v99
	v_add_f16_e32 v84, v100, v84
	v_mul_f16_e32 v100, 0xbbc4, v77
	v_fmamk_f16 v89, v72, 0xb5ac, v80
	v_add_f16_e32 v83, v83, v85
	v_add_f16_e32 v85, v101, v86
	;; [unrolled: 1-line block ×3, first 2 shown]
	v_fmamk_f16 v101, v20, 0x33a8, v100
	v_fmac_f16_e32 v100, 0xb3a8, v20
	v_mul_f16_e32 v102, 0xb9fd, v77
	v_fma_f16 v80, v72, 0xb5ac, -v80
	v_add_f16_e32 v90, v60, v90
	v_mul_f16_e32 v87, 0x394e, v97
	v_add_f16_e32 v91, v99, v91
	v_add_f16_e32 v99, v100, v79
	v_fmamk_f16 v79, v20, 0xb94e, v102
	v_add_f16_e32 v80, v23, v80
	v_add_f16_e32 v81, v60, v81
	v_fma_f16 v82, v72, 0xb9fd, -v82
	v_fmamk_f16 v103, v76, 0xb9fd, v87
	v_mul_f16_e32 v100, 0x3bf1, v97
	v_fma_f16 v87, v76, 0xb9fd, -v87
	v_fmac_f16_e32 v102, 0x394e, v20
	v_add_f16_e32 v90, v79, v90
	v_mul_f16_e32 v79, 0x2fb7, v77
	v_add_f16_e32 v88, v60, v88
	v_add_f16_e32 v82, v23, v82
	;; [unrolled: 1-line block ×4, first 2 shown]
	v_mul_f16_e32 v80, 0x3770, v97
	v_fmamk_f16 v81, v20, 0xbbf1, v79
	v_fma_f16 v97, v76, 0x2fb7, -v100
	v_add_f16_e32 v93, v23, v93
	v_add_f16_e32 v88, v101, v88
	v_fmamk_f16 v101, v76, 0x2fb7, v100
	v_fmac_f16_e32 v79, 0x3bf1, v20
	v_fmamk_f16 v100, v76, 0x3b15, v80
	v_add_f16_e32 v95, v81, v95
	v_mul_f16_e32 v81, 0x3b15, v77
	v_add_f16_e32 v82, v97, v82
	v_sub_f16_e32 v97, v70, v59
	v_add_f16_e32 v94, v60, v94
	v_add_f16_e32 v92, v101, v92
	;; [unrolled: 1-line block ×4, first 2 shown]
	v_fmamk_f16 v100, v20, 0xb770, v81
	v_fma_f16 v101, v76, 0x3b15, -v80
	v_fmac_f16_e32 v81, 0x3770, v20
	v_add_f16_e32 v80, v19, v32
	v_mul_f16_e32 v79, 0xbbf1, v97
	v_sub_f16_e32 v19, v32, v19
	v_add_f16_e32 v89, v23, v89
	v_add_f16_e32 v20, v100, v94
	;; [unrolled: 1-line block ×3, first 2 shown]
	v_fmamk_f16 v98, v80, 0x2fb7, v79
	v_add_f16_e32 v70, v59, v70
	v_mul_f16_e32 v32, 0xbbf1, v19
	v_mul_f16_e32 v59, 0xb3a8, v97
	;; [unrolled: 1-line block ×3, first 2 shown]
	v_add_f16_e32 v89, v103, v89
	v_add_f16_e32 v24, v101, v24
	;; [unrolled: 1-line block ×3, first 2 shown]
	v_mul_f16_e32 v98, 0x3b7b, v97
	v_fma_f16 v100, v70, 0x2fb7, -v32
	v_fmamk_f16 v101, v80, 0xbbc4, v59
	v_fma_f16 v103, v70, 0xbbc4, -v81
	v_mul_f16_e32 v104, 0xb5ac, v70
	v_fmamk_f16 v105, v80, 0xb5ac, v98
	v_add_f16_e32 v100, v100, v84
	v_add_f16_e32 v83, v101, v83
	;; [unrolled: 1-line block ×3, first 2 shown]
	v_fmamk_f16 v84, v19, 0xbb7b, v104
	v_fma_f16 v85, v80, 0xb5ac, -v98
	v_mul_f16_e32 v98, 0x3770, v97
	v_fmac_f16_e32 v104, 0x3b7b, v19
	v_mul_f16_e32 v103, 0xba95, v97
	v_add_f16_e32 v88, v84, v88
	v_mul_f16_e32 v84, 0x3b15, v70
	v_add_f16_e32 v91, v85, v91
	v_fmamk_f16 v85, v80, 0x3b15, v98
	v_fma_f16 v98, v80, 0x3b15, -v98
	v_add_f16_e32 v99, v104, v99
	v_fmamk_f16 v104, v19, 0xb770, v84
	v_fmac_f16_e32 v84, 0x3770, v19
	v_add_f16_e32 v89, v85, v89
	v_fmamk_f16 v85, v80, 0x388b, v103
	v_add_f16_e32 v98, v98, v87
	v_mul_f16_e32 v87, 0x388b, v70
	v_add_f16_e32 v102, v84, v102
	v_mul_f16_e32 v84, 0xb94e, v97
	;; [unrolled: 2-line block ×3, first 2 shown]
	v_fmamk_f16 v97, v19, 0x3a95, v87
	v_add_f16_e32 v86, v105, v86
	v_fma_f16 v103, v80, 0x388b, -v103
	v_fmac_f16_e32 v87, 0xba95, v19
	v_fmamk_f16 v105, v19, 0x394e, v85
	v_add_f16_e32 v95, v97, v95
	v_sub_f16_e32 v97, v65, v66
	v_fmac_f16_e32 v85, 0xb94e, v19
	v_sub_f16_e32 v19, v27, v30
	v_add_f16_e32 v90, v104, v90
	v_fmamk_f16 v104, v80, 0xb9fd, v84
	v_add_f16_e32 v82, v103, v82
	v_add_f16_e32 v96, v87, v96
	v_fma_f16 v87, v80, 0xb9fd, -v84
	v_add_f16_e32 v84, v30, v27
	v_mul_f16_e32 v30, 0xbb7b, v97
	v_add_f16_e32 v27, v85, v94
	v_add_f16_e32 v85, v66, v65
	v_mul_f16_e32 v65, 0xbb7b, v19
	v_mul_f16_e32 v103, 0x3770, v97
	v_add_f16_e32 v93, v104, v93
	v_add_f16_e32 v24, v87, v24
	v_fmamk_f16 v94, v84, 0xb5ac, v30
	v_mul_f16_e32 v66, 0x394e, v97
	v_mul_f16_e32 v87, 0x394e, v19
	v_fma_f16 v104, v85, 0xb5ac, -v65
	v_fmamk_f16 v106, v84, 0x3b15, v103
	v_add_f16_e32 v20, v105, v20
	v_add_f16_e32 v22, v94, v22
	v_fmamk_f16 v94, v84, 0xb9fd, v66
	v_fma_f16 v105, v85, 0xb9fd, -v87
	v_add_f16_e32 v100, v104, v100
	v_mul_f16_e32 v104, 0x3b15, v85
	v_add_f16_e32 v86, v106, v86
	v_fma_f16 v103, v84, 0x3b15, -v103
	v_mul_f16_e32 v106, 0x2fb7, v85
	v_add_f16_e32 v83, v94, v83
	v_add_f16_e32 v101, v105, v101
	v_mul_f16_e32 v94, 0xbbf1, v97
	v_fmamk_f16 v105, v19, 0xb770, v104
	v_fmac_f16_e32 v104, 0x3770, v19
	v_add_f16_e32 v91, v103, v91
	v_fmamk_f16 v103, v19, 0x3bf1, v106
	v_fmamk_f16 v107, v84, 0x2fb7, v94
	v_fma_f16 v94, v84, 0x2fb7, -v94
	v_add_f16_e32 v99, v104, v99
	v_mul_f16_e32 v104, 0x33a8, v97
	v_add_f16_e32 v90, v103, v90
	v_mul_f16_e32 v103, 0xbbc4, v85
	v_add_f16_e32 v88, v105, v88
	v_fmac_f16_e32 v106, 0xbbf1, v19
	v_fmamk_f16 v105, v84, 0xbbc4, v104
	v_add_f16_e32 v98, v94, v98
	v_mul_f16_e32 v94, 0x3a95, v97
	v_fmamk_f16 v97, v19, 0xb3a8, v103
	v_add_f16_e32 v102, v106, v102
	v_add_f16_e32 v105, v105, v92
	v_fma_f16 v92, v84, 0xbbc4, -v104
	v_fmamk_f16 v104, v84, 0x388b, v94
	v_add_f16_e32 v106, v97, v95
	v_mul_f16_e32 v97, 0x388b, v85
	v_add_f16_e32 v89, v107, v89
	v_sub_f16_e32 v107, v63, v64
	v_add_f16_e32 v104, v104, v93
	v_fmac_f16_e32 v103, 0x33a8, v19
	v_fmamk_f16 v93, v19, 0xba95, v97
	v_add_f16_e32 v82, v92, v82
	v_fma_f16 v94, v84, 0x388b, -v94
	v_fmac_f16_e32 v97, 0x3a95, v19
	v_add_f16_e32 v95, v29, v28
	v_mul_f16_e32 v92, 0xb94e, v107
	v_add_f16_e32 v19, v93, v20
	v_sub_f16_e32 v20, v28, v29
	v_add_f16_e32 v103, v103, v96
	v_add_f16_e32 v24, v94, v24
	v_fmamk_f16 v28, v95, 0xb9fd, v92
	v_add_f16_e32 v96, v64, v63
	v_mul_f16_e32 v93, 0xb94e, v20
	v_mul_f16_e32 v94, 0x3bf1, v107
	v_add_f16_e32 v27, v97, v27
	v_add_f16_e32 v22, v28, v22
	v_mul_f16_e32 v28, 0xba95, v107
	v_fma_f16 v29, v96, 0xb9fd, -v93
	v_fmamk_f16 v63, v95, 0x2fb7, v94
	v_mul_f16_e32 v108, 0x388b, v96
	v_mul_f16_e32 v97, 0x3bf1, v20
	v_fmamk_f16 v109, v95, 0x388b, v28
	v_add_f16_e32 v29, v29, v100
	v_add_f16_e32 v63, v63, v83
	v_fmamk_f16 v83, v20, 0x3a95, v108
	v_fma_f16 v28, v95, 0x388b, -v28
	v_mul_f16_e32 v100, 0x33a8, v107
	v_fmac_f16_e32 v108, 0xba95, v20
	v_fma_f16 v64, v96, 0x2fb7, -v97
	v_add_f16_e32 v88, v83, v88
	v_mul_f16_e32 v83, 0xbbc4, v96
	v_add_f16_e32 v28, v28, v91
	v_fmamk_f16 v91, v95, 0xbbc4, v100
	v_add_f16_e32 v108, v108, v99
	v_mul_f16_e32 v99, 0x3770, v107
	v_add_f16_e32 v64, v64, v101
	v_fmamk_f16 v101, v20, 0xb3a8, v83
	v_add_f16_e32 v91, v91, v89
	v_add_f16_e32 v86, v109, v86
	v_fmamk_f16 v89, v95, 0x3b15, v99
	v_fma_f16 v100, v95, 0xbbc4, -v100
	v_fmac_f16_e32 v83, 0x33a8, v20
	v_add_f16_e32 v109, v101, v90
	v_mul_f16_e32 v90, 0x3b15, v96
	v_add_f16_e32 v105, v89, v105
	v_mul_f16_e32 v89, 0xb5ac, v96
	v_add_f16_e32 v110, v100, v98
	v_add_f16_e32 v111, v83, v102
	v_mul_f16_e32 v83, 0xbb7b, v107
	v_fmamk_f16 v98, v20, 0xb770, v90
	v_fma_f16 v99, v95, 0x3b15, -v99
	v_fmac_f16_e32 v90, 0x3770, v20
	v_fmamk_f16 v101, v20, 0x3b7b, v89
	v_sub_f16_e32 v114, v61, v62
	v_sub_f16_e32 v115, v25, v26
	v_fmamk_f16 v100, v95, 0xb5ac, v83
	v_add_f16_e32 v106, v98, v106
	v_add_f16_e32 v107, v99, v82
	;; [unrolled: 1-line block ×4, first 2 shown]
	v_fma_f16 v19, v95, 0xb5ac, -v83
	v_add_f16_e32 v102, v26, v25
	v_mul_f16_e32 v98, 0xb3a8, v114
	v_add_f16_e32 v103, v62, v61
	v_mul_f16_e32 v99, 0xb3a8, v115
	v_add_f16_e32 v104, v100, v104
	v_fmac_f16_e32 v89, 0xbb7b, v20
	v_add_f16_e32 v116, v19, v24
	v_fmamk_f16 v19, v102, 0xbbc4, v98
	v_mul_f16_e32 v100, 0x3770, v114
	v_mul_f16_e32 v101, 0x3770, v115
	v_fma_f16 v20, v103, 0xbbc4, -v99
	v_mul_f16_e32 v26, 0xb94e, v114
	v_add_f16_e32 v117, v89, v27
	v_add_f16_e32 v22, v19, v22
	v_fmamk_f16 v19, v102, 0x3b15, v100
	v_fma_f16 v25, v103, 0x3b15, -v101
	v_add_f16_e32 v83, v20, v29
	v_fmamk_f16 v20, v102, 0xb9fd, v26
	v_mul_f16_e32 v27, 0xb9fd, v103
	v_mul_f16_e32 v29, 0x3a95, v114
	v_add_f16_e32 v24, v19, v63
	v_add_f16_e32 v82, v25, v64
	;; [unrolled: 1-line block ×3, first 2 shown]
	v_fmamk_f16 v19, v115, 0x394e, v27
	v_fma_f16 v20, v102, 0xb9fd, -v26
	v_fmamk_f16 v26, v102, 0x388b, v29
	v_mul_f16_e32 v61, 0x388b, v103
	v_fmac_f16_e32 v27, 0xb94e, v115
	v_add_f16_e32 v63, v19, v88
	v_add_f16_e32 v89, v20, v28
	v_add_f16_e32 v19, v26, v91
	v_fmamk_f16 v20, v115, 0xba95, v61
	v_mul_f16_e32 v26, 0xbb7b, v114
	v_add_f16_e32 v90, v27, v108
	v_fma_f16 v27, v102, 0x388b, -v29
	v_mul_f16_e32 v62, 0xb5ac, v103
	v_add_f16_e32 v64, v20, v109
	v_fmamk_f16 v20, v102, 0xb5ac, v26
	v_fmac_f16_e32 v61, 0x3a95, v115
	v_add_f16_e32 v29, v27, v110
	v_fmamk_f16 v27, v115, 0x3b7b, v62
	v_fma_f16 v26, v102, 0xb5ac, -v26
	v_add_f16_e32 v20, v20, v105
	v_mul_f16_e32 v86, 0x3bf1, v114
	v_mul_f16_e32 v105, 0x2fb7, v103
	v_add_f16_e32 v91, v61, v111
	v_add_f16_e32 v61, v27, v106
	v_add_f16_e32 v28, v26, v107
	v_fmac_f16_e32 v62, 0xbb7b, v115
	v_fmamk_f16 v26, v102, 0x2fb7, v86
	v_fmamk_f16 v27, v115, 0xbbf1, v105
	v_fma_f16 v86, v102, 0x2fb7, -v86
	v_fmac_f16_e32 v105, 0x3bf1, v115
	v_add_f16_e32 v88, v62, v112
	v_add_f16_e32 v26, v26, v104
	;; [unrolled: 1-line block ×5, first 2 shown]
	global_wb scope:SCOPE_SE
	s_barrier_signal -1
	s_barrier_wait -1
	global_inv scope:SCOPE_SE
	s_and_saveexec_b32 s1, vcc_lo
	s_cbranch_execz .LBB0_17
; %bb.16:
	v_mul_f16_e32 v104, 0x388b, v73
	v_mul_f16_e32 v105, 0x3b15, v72
	;; [unrolled: 1-line block ×5, first 2 shown]
	v_add_f16_e32 v71, v71, v104
	v_mul_f16_e32 v104, 0xb5ac, v77
	v_mul_f16_e32 v77, 0x388b, v77
	;; [unrolled: 1-line block ×3, first 2 shown]
	v_sub_f16_e32 v69, v72, v69
	v_add_f16_e32 v68, v68, v73
	v_sub_f16_e32 v67, v105, v67
	v_mul_f16_e32 v107, 0x2fb7, v80
	v_add_f16_e32 v71, v60, v71
	v_add_f16_e32 v78, v78, v104
	v_mul_f16_e32 v104, 0xbbc4, v70
	v_mul_f16_e32 v70, 0x2fb7, v70
	v_mul_f16_e32 v80, 0xbbc4, v80
	v_add_f16_e32 v69, v23, v69
	v_sub_f16_e32 v73, v76, v75
	v_add_f16_e32 v60, v60, v68
	v_add_f16_e32 v68, v74, v77
	v_add_f16_e32 v23, v23, v67
	v_sub_f16_e32 v31, v106, v31
	v_mul_f16_e32 v108, 0xb5ac, v84
	v_add_f16_e32 v71, v78, v71
	v_add_f16_e32 v78, v81, v104
	v_mul_f16_e32 v81, 0xb9fd, v85
	v_mul_f16_e32 v85, 0xb5ac, v85
	v_mul_f16_e32 v84, 0xb9fd, v84
	v_add_f16_e32 v67, v73, v69
	v_sub_f16_e32 v59, v80, v59
	v_add_f16_e32 v60, v68, v60
	v_add_f16_e32 v32, v32, v70
	;; [unrolled: 12-line block ×4, first 2 shown]
	v_add_f16_e32 v23, v30, v23
	v_sub_f16_e32 v30, v104, v92
	v_add_f16_e32 v71, v78, v71
	v_add_f16_e32 v72, v101, v97
	;; [unrolled: 1-line block ×3, first 2 shown]
	v_sub_f16_e32 v59, v102, v100
	v_add_f16_e32 v32, v60, v32
	v_add_f16_e32 v60, v99, v81
	;; [unrolled: 1-line block ×3, first 2 shown]
	v_sub_f16_e32 v30, v96, v98
	v_and_b32_e32 v39, 0xffff, v39
	v_add_f16_e32 v65, v72, v71
	v_add_f16_e32 v31, v59, v31
	;; [unrolled: 1-line block ×4, first 2 shown]
	v_lshlrev_b32_e32 v30, 2, v39
	v_perm_b32 v39, v83, v22, 0x5040100
	v_perm_b32 v59, v58, v21, 0x5040100
	v_perm_b32 v60, v63, v25, 0x5040100
	v_perm_b32 v66, v82, v24, 0x5040100
	v_perm_b32 v67, v61, v20, 0x5040100
	v_perm_b32 v68, v64, v19, 0x5040100
	v_perm_b32 v69, v86, v27, 0x5040100
	v_perm_b32 v70, v62, v26, 0x5040100
	v_perm_b32 v71, v91, v29, 0x5040100
	v_perm_b32 v72, v88, v28, 0x5040100
	v_pack_b32_f16 v31, v31, v65
	v_perm_b32 v65, v90, v89, 0x5040100
	v_pack_b32_f16 v23, v23, v32
	ds_store_2addr_b32 v30, v59, v39 offset1:1
	ds_store_2addr_b32 v30, v66, v60 offset0:2 offset1:3
	ds_store_2addr_b32 v30, v68, v67 offset0:4 offset1:5
	;; [unrolled: 1-line block ×5, first 2 shown]
	ds_store_b32 v30, v23 offset:48
.LBB0_17:
	s_wait_alu 0xfffe
	s_or_b32 exec_lo, exec_lo, s1
	global_wb scope:SCOPE_SE
	s_wait_dscnt 0x0
	s_barrier_signal -1
	s_barrier_wait -1
	global_inv scope:SCOPE_SE
	s_and_saveexec_b32 s1, s0
	s_cbranch_execz .LBB0_19
; %bb.18:
	v_add_nc_u32_e32 v19, 0x400, v33
	v_add_nc_u32_e32 v20, 0x800, v33
	;; [unrolled: 1-line block ×4, first 2 shown]
	ds_load_2addr_b32 v[21:22], v33 offset1:130
	ds_load_2addr_b32 v[24:25], v19 offset0:4 offset1:134
	ds_load_2addr_b32 v[19:20], v20 offset0:8 offset1:138
	ds_load_2addr_b32 v[26:27], v23 offset0:12 offset1:142
	ds_load_2addr_b32 v[28:29], v28 offset0:16 offset1:146
	ds_load_b32 v89, v33 offset:5200
	s_wait_dscnt 0x3
	v_lshrrev_b32_e32 v64, 16, v19
	v_lshrrev_b32_e32 v58, 16, v21
	;; [unrolled: 1-line block ×6, first 2 shown]
	s_wait_dscnt 0x2
	v_lshrrev_b32_e32 v62, 16, v26
	v_lshrrev_b32_e32 v86, 16, v27
	s_wait_dscnt 0x1
	v_lshrrev_b32_e32 v88, 16, v28
	v_lshrrev_b32_e32 v91, 16, v29
	s_wait_dscnt 0x0
	v_lshrrev_b32_e32 v90, 16, v89
.LBB0_19:
	s_wait_alu 0xfffe
	s_or_b32 exec_lo, exec_lo, s1
	global_wb scope:SCOPE_SE
	s_barrier_signal -1
	s_barrier_wait -1
	global_inv scope:SCOPE_SE
	s_and_saveexec_b32 s1, s0
	s_cbranch_execz .LBB0_21
; %bb.20:
	v_mul_f16_e32 v23, v48, v83
	v_mul_f16_e32 v30, v50, v90
	;; [unrolled: 1-line block ×5, first 2 shown]
	v_fmac_f16_e32 v23, v4, v22
	v_fmac_f16_e32 v30, v18, v89
	v_mul_f16_e32 v22, v45, v82
	v_fma_f16 v18, v18, v90, -v31
	v_fma_f16 v31, v4, v83, -v32
	v_fmac_f16_e32 v39, v17, v29
	v_sub_f16_e32 v32, v23, v30
	v_fmac_f16_e32 v22, v5, v24
	v_mul_f16_e32 v29, v47, v29
	v_mul_f16_e32 v24, v45, v24
	;; [unrolled: 1-line block ×5, first 2 shown]
	v_add_f16_e32 v47, v18, v31
	v_sub_f16_e32 v4, v22, v39
	v_fma_f16 v17, v17, v91, -v29
	v_fma_f16 v5, v5, v82, -v24
	v_fmac_f16_e32 v50, v6, v25
	v_fmac_f16_e32 v59, v3, v28
	v_mul_f16_e32 v28, v44, v28
	v_mul_f16_e32 v25, v43, v25
	;; [unrolled: 1-line block ×4, first 2 shown]
	v_fmamk_f16 v24, v47, 0xbbad, v45
	v_mul_f16_e32 v29, 0x3853, v4
	v_add_f16_e32 v48, v17, v5
	v_sub_f16_e32 v65, v50, v59
	v_fma_f16 v3, v3, v88, -v28
	v_fma_f16 v6, v6, v63, -v25
	v_fmac_f16_e32 v43, v7, v19
	v_fmac_f16_e32 v44, v2, v27
	v_mul_f16_e32 v25, v41, v27
	v_mul_f16_e32 v19, v40, v19
	v_add_f16_e32 v24, v58, v24
	v_fmamk_f16 v60, v48, 0x3abb, v29
	v_mul_f16_e32 v27, 0xba0c, v65
	v_add_f16_e32 v28, v3, v6
	v_sub_f16_e32 v40, v43, v44
	v_fma_f16 v2, v2, v86, -v25
	v_fma_f16 v7, v7, v64, -v19
	v_add_f16_e32 v19, v60, v24
	v_fmamk_f16 v24, v28, 0xb93d, v27
	v_mul_f16_e32 v25, 0x3b47, v40
	v_mul_f16_e32 v60, v37, v61
	v_add_f16_e32 v41, v2, v7
	v_mul_f16_e32 v63, v38, v62
	v_add_f16_e32 v19, v24, v19
	v_sub_f16_e32 v66, v5, v17
	v_fmac_f16_e32 v60, v0, v20
	v_fmamk_f16 v24, v41, 0x36a6, v25
	v_fmac_f16_e32 v63, v1, v26
	v_mul_f16_e32 v26, v38, v26
	v_mul_f16_e32 v20, v37, v20
	v_add_f16_e32 v37, v30, v23
	v_add_f16_e32 v19, v24, v19
	v_sub_f16_e32 v24, v31, v18
	v_fma_f16 v1, v1, v62, -v26
	v_fma_f16 v0, v0, v61, -v20
	v_add_f16_e32 v26, v39, v22
	v_mul_f16_e32 v61, 0x3853, v66
	v_mul_f16_e32 v38, 0xb482, v24
	v_sub_f16_e32 v67, v6, v3
	v_add_f16_e32 v70, v59, v50
	v_sub_f16_e32 v73, v7, v2
	v_fma_f16 v69, v26, 0x3abb, -v61
	v_fma_f16 v20, v37, 0xbbad, -v38
	v_mul_f16_e32 v71, 0xba0c, v67
	v_fma_f16 v45, v47, 0xbbad, -v45
	v_add_f16_e32 v74, v44, v43
	v_mul_f16_e32 v75, 0x3b47, v73
	v_add_f16_e32 v20, v21, v20
	v_sub_f16_e32 v76, v0, v1
	v_add_f16_e32 v45, v58, v45
	v_fma_f16 v29, v48, 0x3abb, -v29
	v_add_f16_e32 v77, v63, v60
	v_add_f16_e32 v20, v69, v20
	v_fma_f16 v69, v70, 0xb93d, -v71
	v_mul_f16_e32 v78, 0xbbeb, v76
	v_add_f16_e32 v29, v29, v45
	v_fma_f16 v27, v28, 0xb93d, -v27
	v_sub_f16_e32 v64, v60, v63
	v_add_f16_e32 v20, v69, v20
	v_fma_f16 v69, v74, 0x36a6, -v75
	v_fmac_f16_e32 v38, 0xbbad, v37
	v_fma_f16 v45, v77, 0xb08e, -v78
	v_add_f16_e32 v27, v27, v29
	v_fma_f16 v25, v41, 0x36a6, -v25
	v_add_f16_e32 v20, v69, v20
	v_mul_f16_e32 v29, 0xb93d, v47
	v_mul_f16_e32 v62, 0xbbeb, v64
	v_add_f16_e32 v68, v1, v0
	v_add_f16_e32 v38, v21, v38
	v_fmac_f16_e32 v61, 0x3abb, v26
	v_add_f16_e32 v20, v45, v20
	v_add_f16_e32 v25, v25, v27
	v_fmamk_f16 v27, v32, 0x3a0c, v29
	v_mul_f16_e32 v45, 0xb08e, v48
	v_fmamk_f16 v72, v68, 0xb08e, v62
	v_add_f16_e32 v38, v61, v38
	v_fma_f16 v61, v68, 0xb08e, -v62
	v_add_f16_e32 v27, v58, v27
	v_fmamk_f16 v62, v4, 0xbbeb, v45
	v_mul_f16_e32 v69, 0x3abb, v28
	v_add_f16_e32 v19, v72, v19
	v_add_f16_e32 v25, v61, v25
	v_mul_f16_e32 v72, 0x36a6, v68
	v_add_f16_e32 v27, v62, v27
	v_fmamk_f16 v61, v65, 0x3853, v69
	v_mul_f16_e32 v62, 0xbbad, v41
	v_mul_f16_e32 v79, 0xb08e, v47
	;; [unrolled: 1-line block ×4, first 2 shown]
	v_add_f16_e32 v27, v61, v27
	v_fmamk_f16 v61, v40, 0x3482, v62
	v_mul_f16_e32 v87, 0x3abb, v41
	v_fmamk_f16 v84, v4, 0xb482, v82
	v_mul_f16_e32 v89, 0xb93d, v68
	v_mul_f16_e32 v91, 0x36a6, v47
	v_add_f16_e32 v27, v61, v27
	v_fmamk_f16 v61, v64, 0xbb47, v72
	v_mul_f16_e32 v94, 0xb93d, v48
	v_mul_f16_e32 v97, 0xbbad, v28
	v_mul_f16_e32 v99, 0xb08e, v41
	v_mul_f16_e32 v101, 0x3abb, v68
	v_add_f16_e32 v27, v61, v27
	v_fmamk_f16 v61, v32, 0x3beb, v79
	v_fmamk_f16 v96, v4, 0x3a0c, v94
	v_mul_f16_e32 v47, 0x3abb, v47
	v_mul_f16_e32 v48, 0x36a6, v48
	v_fmac_f16_e32 v71, 0xb93d, v70
	v_add_f16_e32 v61, v58, v61
	v_mul_f16_e32 v28, 0xb08e, v28
	v_fmac_f16_e32 v75, 0x36a6, v74
	v_fmamk_f16 v106, v4, 0x3b47, v48
	v_add_f16_e32 v38, v71, v38
	v_add_f16_e32 v61, v84, v61
	v_fmamk_f16 v84, v65, 0xbb47, v85
	v_mul_f16_e32 v41, 0xb93d, v41
	v_add_f16_e32 v23, v21, v23
	v_add_f16_e32 v38, v75, v38
	v_fmac_f16_e32 v78, 0xb08e, v77
	v_add_f16_e32 v61, v84, v61
	v_fmamk_f16 v84, v40, 0x3853, v87
	v_mul_f16_e32 v71, 0xba0c, v24
	v_mul_f16_e32 v88, 0xbbeb, v24
	;; [unrolled: 1-line block ×4, first 2 shown]
	v_add_f16_e32 v61, v84, v61
	v_fmamk_f16 v84, v64, 0x3a0c, v89
	v_add_f16_e32 v22, v22, v23
	v_add_f16_e32 v23, v31, v58
	v_add_f16_e32 v38, v78, v38
	v_mul_f16_e32 v78, 0x3beb, v66
	v_add_f16_e32 v61, v84, v61
	v_fmamk_f16 v84, v32, 0x3b47, v91
	v_mul_f16_e32 v90, 0x3482, v66
	v_mul_f16_e32 v102, 0xba0c, v66
	;; [unrolled: 1-line block ×3, first 2 shown]
	v_add_f16_e32 v22, v50, v22
	v_add_f16_e32 v84, v58, v84
	;; [unrolled: 1-line block ×3, first 2 shown]
	v_mul_f16_e32 v23, 0xbbad, v68
	v_fmamk_f16 v68, v26, 0x36a6, v66
	v_add_f16_e32 v22, v43, v22
	v_add_f16_e32 v84, v96, v84
	v_fmamk_f16 v96, v65, 0xb482, v97
	v_add_f16_e32 v5, v6, v5
	v_mul_f16_e32 v6, 0xbbeb, v67
	v_fmamk_f16 v43, v64, 0x3482, v23
	v_add_f16_e32 v22, v60, v22
	v_add_f16_e32 v84, v96, v84
	v_fmamk_f16 v96, v40, 0xbbeb, v99
	v_add_f16_e32 v5, v7, v5
	v_fmamk_f16 v7, v70, 0xb08e, v6
	v_mul_f16_e32 v60, 0xba0c, v73
	v_fmamk_f16 v75, v37, 0xb93d, v71
	v_add_f16_e32 v84, v96, v84
	v_fmamk_f16 v96, v64, 0xb853, v101
	v_add_f16_e32 v0, v0, v5
	;; [unrolled: 2-line block ×3, first 2 shown]
	v_mul_f16_e32 v81, 0xb853, v67
	v_add_f16_e32 v84, v96, v84
	v_fmamk_f16 v96, v32, 0x3853, v47
	v_add_f16_e32 v0, v1, v0
	v_add_f16_e32 v75, v80, v75
	v_fmamk_f16 v80, v70, 0x3abb, v81
	v_mul_f16_e32 v83, 0xb482, v73
	v_add_f16_e32 v96, v58, v96
	v_add_f16_e32 v0, v2, v0
	v_mul_f16_e32 v86, 0x3b47, v76
	v_add_f16_e32 v75, v80, v75
	v_fmamk_f16 v80, v74, 0xbbad, v83
	v_add_f16_e32 v96, v106, v96
	v_fmamk_f16 v106, v65, 0x3beb, v28
	v_add_f16_e32 v0, v3, v0
	v_add_f16_e32 v22, v63, v22
	;; [unrolled: 1-line block ×3, first 2 shown]
	v_fmamk_f16 v80, v77, 0x36a6, v86
	v_add_f16_e32 v96, v106, v96
	v_fmamk_f16 v106, v40, 0x3a0c, v41
	v_add_f16_e32 v0, v17, v0
	v_fmac_f16_e32 v79, 0xbbeb, v32
	v_add_f16_e32 v75, v80, v75
	v_fmamk_f16 v80, v37, 0xb08e, v88
	v_add_f16_e32 v31, v106, v96
	v_fmamk_f16 v96, v37, 0x3abb, v24
	v_add_f16_e32 v22, v44, v22
	v_add_f16_e32 v0, v18, v0
	v_add_f16_e32 v17, v58, v79
	v_add_f16_e32 v31, v43, v31
	v_add_f16_e32 v50, v21, v96
	v_mul_f16_e32 v43, 0xb482, v76
	v_fmac_f16_e32 v82, 0x3482, v4
	v_fma_f16 v18, v37, 0xb08e, -v88
	v_add_f16_e32 v80, v21, v80
	v_add_f16_e32 v50, v68, v50
	v_fmamk_f16 v92, v26, 0xbbad, v90
	v_mul_f16_e32 v93, 0x3b47, v67
	v_add_f16_e32 v17, v82, v17
	v_fmac_f16_e32 v85, 0x3b47, v65
	v_add_f16_e32 v5, v7, v50
	v_fmamk_f16 v7, v74, 0xb93d, v60
	v_add_f16_e32 v18, v21, v18
	v_fmac_f16_e32 v91, 0xbb47, v32
	v_add_f16_e32 v80, v92, v80
	v_fmamk_f16 v92, v70, 0x36a6, v93
	v_add_f16_e32 v1, v7, v5
	v_fmamk_f16 v5, v77, 0xbbad, v43
	v_add_f16_e32 v7, v59, v22
	v_fma_f16 v22, v26, 0xbbad, -v90
	v_mul_f16_e32 v95, 0xb853, v73
	v_fmac_f16_e32 v94, 0xba0c, v4
	v_add_f16_e32 v1, v5, v1
	v_fma_f16 v5, v37, 0xb93d, -v71
	v_add_f16_e32 v80, v92, v80
	v_fmamk_f16 v92, v74, 0x3abb, v95
	v_mul_f16_e32 v98, 0xba0c, v76
	v_fmac_f16_e32 v29, 0xba0c, v32
	v_add_f16_e32 v3, v21, v5
	v_fma_f16 v5, v26, 0xb08e, -v78
	v_fmac_f16_e32 v97, 0x3482, v65
	v_add_f16_e32 v80, v92, v80
	v_fmamk_f16 v92, v77, 0xb93d, v98
	v_add_f16_e32 v2, v58, v29
	v_add_f16_e32 v3, v5, v3
	v_fma_f16 v5, v70, 0x3abb, -v81
	v_add_f16_e32 v7, v39, v7
	v_fma_f16 v29, v37, 0x36a6, -v100
	v_fmac_f16_e32 v99, 0x3beb, v40
	v_add_f16_e32 v80, v92, v80
	v_add_f16_e32 v3, v5, v3
	v_fma_f16 v5, v74, 0xbbad, -v83
	v_fmamk_f16 v92, v37, 0x36a6, v100
	v_mul_f16_e32 v104, 0x3482, v67
	v_add_f16_e32 v7, v30, v7
	v_add_f16_e32 v29, v21, v29
	;; [unrolled: 1-line block ×3, first 2 shown]
	v_fma_f16 v5, v77, 0x36a6, -v86
	v_fma_f16 v30, v26, 0xb93d, -v102
	v_fmac_f16_e32 v47, 0xb853, v32
	v_add_f16_e32 v92, v21, v92
	v_fmamk_f16 v103, v26, 0xb93d, v102
	v_add_f16_e32 v3, v5, v3
	v_add_f16_e32 v5, v85, v17
	;; [unrolled: 1-line block ×3, first 2 shown]
	v_fma_f16 v18, v70, 0x36a6, -v93
	v_add_f16_e32 v22, v58, v91
	v_fmac_f16_e32 v45, 0x3beb, v4
	v_mul_f16_e32 v105, 0x3beb, v73
	v_fmac_f16_e32 v48, 0xbb47, v4
	v_add_f16_e32 v17, v18, v17
	v_fma_f16 v18, v74, 0x3abb, -v95
	v_add_f16_e32 v22, v94, v22
	v_add_f16_e32 v92, v103, v92
	v_fmamk_f16 v103, v70, 0xbbad, v104
	v_add_f16_e32 v2, v45, v2
	v_add_f16_e32 v17, v18, v17
	v_fma_f16 v18, v77, 0xb93d, -v98
	v_add_f16_e32 v22, v97, v22
	v_fmac_f16_e32 v69, 0xb853, v65
	v_fmac_f16_e32 v28, 0xbbeb, v65
	v_fma_f16 v6, v70, 0xb08e, -v6
	v_add_f16_e32 v17, v18, v17
	v_add_f16_e32 v18, v99, v22
	v_fma_f16 v22, v37, 0x3abb, -v24
	v_add_f16_e32 v24, v30, v29
	v_fma_f16 v29, v70, 0xbbad, -v104
	v_add_f16_e32 v30, v58, v47
	v_add_f16_e32 v92, v103, v92
	;; [unrolled: 1-line block ×3, first 2 shown]
	v_fma_f16 v21, v26, 0x36a6, -v66
	v_add_f16_e32 v22, v29, v24
	v_fma_f16 v24, v74, 0xb08e, -v105
	v_add_f16_e32 v26, v48, v30
	v_fmamk_f16 v103, v74, 0xb08e, v105
	v_add_f16_e32 v4, v21, v4
	v_mul_f16_e32 v107, 0x3853, v76
	v_add_f16_e32 v2, v69, v2
	v_fmac_f16_e32 v62, 0xb482, v40
	v_fmac_f16_e32 v87, 0xb853, v40
	v_add_f16_e32 v21, v24, v22
	v_add_f16_e32 v22, v28, v26
	v_fmac_f16_e32 v41, 0xba0c, v40
	v_add_f16_e32 v4, v6, v4
	v_fma_f16 v6, v74, 0xb93d, -v60
	v_add_f16_e32 v92, v103, v92
	v_fmamk_f16 v103, v77, 0x3abb, v107
	v_mul_u32_u24_e32 v26, 0x8f, v36
	v_add_f16_e32 v2, v62, v2
	v_fmac_f16_e32 v72, 0x3b47, v64
	v_add_f16_e32 v5, v87, v5
	v_fmac_f16_e32 v89, 0xba0c, v64
	v_fmac_f16_e32 v101, 0x3853, v64
	v_fma_f16 v24, v77, 0x3abb, -v107
	v_add_f16_e32 v22, v41, v22
	v_fmac_f16_e32 v23, 0xb482, v64
	v_add_f16_e32 v4, v6, v4
	v_fma_f16 v6, v77, 0xbbad, -v43
	v_add_f16_e32 v92, v103, v92
	v_add_lshl_u32 v26, v26, v35, 2
	v_pack_b32_f16 v0, v7, v0
	v_pack_b32_f16 v1, v1, v31
	v_add_f16_e32 v2, v72, v2
	v_add_f16_e32 v5, v89, v5
	;; [unrolled: 1-line block ×6, first 2 shown]
	ds_store_2addr_b32 v26, v0, v1 offset1:13
	v_pack_b32_f16 v0, v92, v84
	v_pack_b32_f16 v1, v80, v61
	;; [unrolled: 1-line block ×9, first 2 shown]
	ds_store_2addr_b32 v26, v0, v1 offset0:26 offset1:39
	ds_store_2addr_b32 v26, v6, v22 offset0:52 offset1:65
	;; [unrolled: 1-line block ×4, first 2 shown]
	ds_store_b32 v26, v4 offset:520
.LBB0_21:
	s_wait_alu 0xfffe
	s_or_b32 exec_lo, exec_lo, s1
	v_add_nc_u32_e32 v0, 0x400, v33
	global_wb scope:SCOPE_SE
	s_wait_dscnt 0x0
	s_barrier_signal -1
	s_barrier_wait -1
	global_inv scope:SCOPE_SE
	ds_load_2addr_b32 v[2:3], v33 offset1:143
	ds_load_2addr_b32 v[5:6], v0 offset0:30 offset1:173
	v_add_nc_u32_e32 v1, 0x800, v33
	v_add_nc_u32_e32 v4, 0xc00, v33
	;; [unrolled: 1-line block ×3, first 2 shown]
	ds_load_2addr_b32 v[17:18], v1 offset0:60 offset1:203
	ds_load_2addr_b32 v[19:20], v4 offset0:90 offset1:233
	;; [unrolled: 1-line block ×3, first 2 shown]
	s_wait_dscnt 0x4
	v_lshrrev_b32_e32 v24, 16, v3
	s_wait_dscnt 0x3
	v_lshrrev_b32_e32 v27, 16, v6
	v_mul_f16_e32 v25, v57, v3
	v_lshrrev_b32_e32 v26, 16, v5
	v_mul_f16_e32 v37, v56, v6
	s_wait_dscnt 0x2
	v_lshrrev_b32_e32 v28, 16, v17
	v_lshrrev_b32_e32 v29, 16, v18
	v_mul_f16_e32 v36, v57, v24
	v_mul_f16_e32 v40, v56, v27
	s_wait_dscnt 0x1
	v_lshrrev_b32_e32 v30, 16, v19
	v_lshrrev_b32_e32 v31, 16, v20
	v_fma_f16 v24, v12, v24, -v25
	v_mul_f16_e32 v25, v55, v5
	v_mul_f16_e32 v38, v54, v17
	;; [unrolled: 1-line block ×3, first 2 shown]
	v_fmac_f16_e32 v36, v12, v3
	v_mul_f16_e32 v12, v54, v28
	v_fmac_f16_e32 v40, v14, v6
	v_mul_f16_e32 v6, v53, v29
	s_wait_dscnt 0x0
	v_lshrrev_b32_e32 v32, 16, v21
	v_fma_f16 v3, v13, v26, -v25
	v_fmac_f16_e32 v39, v13, v5
	v_fma_f16 v5, v14, v27, -v37
	v_fmac_f16_e32 v12, v15, v17
	v_fma_f16 v13, v15, v28, -v38
	v_mul_f16_e32 v14, v53, v18
	v_mul_f16_e32 v15, v52, v30
	v_fmac_f16_e32 v6, v8, v18
	v_mul_f16_e32 v17, v52, v19
	v_mul_f16_e32 v18, v51, v31
	v_fma_f16 v8, v8, v29, -v14
	v_fmac_f16_e32 v15, v9, v19
	v_mul_f16_e32 v14, v49, v21
	v_fma_f16 v9, v9, v30, -v17
	v_fmac_f16_e32 v18, v10, v20
	v_mul_f16_e32 v17, v51, v20
	v_mul_f16_e32 v20, v49, v32
	v_add_f16_e32 v19, v12, v15
	v_fma_f16 v14, v11, v32, -v14
	v_add_f16_e32 v26, v2, v39
	v_lshrrev_b32_e32 v23, 16, v2
	v_fmac_f16_e32 v20, v11, v21
	v_fma_f16 v19, -0.5, v19, v2
	v_sub_f16_e32 v27, v3, v14
	v_add_f16_e32 v11, v26, v12
	v_sub_f16_e32 v21, v13, v9
	v_add_f16_e32 v29, v39, v20
	v_sub_f16_e32 v26, v39, v12
	v_sub_f16_e32 v28, v20, v15
	v_fma_f16 v10, v10, v31, -v17
	v_fmamk_f16 v17, v27, 0xbb9c, v19
	v_fmac_f16_e32 v2, -0.5, v29
	v_fmac_f16_e32 v19, 0x3b9c, v27
	v_add_f16_e32 v26, v26, v28
	v_add_f16_e32 v31, v23, v3
	v_lshrrev_b32_e32 v35, 16, v22
	v_fmamk_f16 v28, v21, 0x3b9c, v2
	v_fmac_f16_e32 v2, 0xbb9c, v21
	v_add_f16_e32 v11, v11, v15
	v_sub_f16_e32 v29, v12, v39
	v_sub_f16_e32 v30, v15, v20
	v_add_f16_e32 v32, v13, v9
	v_fmac_f16_e32 v17, 0xb8b4, v21
	v_fmac_f16_e32 v19, 0x38b4, v21
	;; [unrolled: 1-line block ×3, first 2 shown]
	v_add_f16_e32 v21, v31, v13
	v_fmac_f16_e32 v2, 0x38b4, v27
	v_add_f16_e32 v27, v3, v14
	v_mul_f16_e32 v25, v46, v35
	v_add_f16_e32 v11, v11, v20
	v_add_f16_e32 v29, v29, v30
	v_fma_f16 v30, -0.5, v32, v23
	v_sub_f16_e32 v20, v39, v20
	v_add_f16_e32 v21, v21, v9
	v_sub_f16_e32 v12, v12, v15
	v_sub_f16_e32 v15, v3, v13
	;; [unrolled: 1-line block ×3, first 2 shown]
	v_fmac_f16_e32 v23, -0.5, v27
	v_sub_f16_e32 v3, v13, v3
	v_sub_f16_e32 v9, v9, v14
	v_add_f16_e32 v13, v36, v40
	v_fmac_f16_e32 v25, v42, v22
	v_mul_f16_e32 v22, v46, v22
	v_fmac_f16_e32 v17, 0x34f2, v26
	v_fmac_f16_e32 v19, 0x34f2, v26
	v_fmamk_f16 v26, v20, 0x3b9c, v30
	v_fmac_f16_e32 v30, 0xbb9c, v20
	v_fmamk_f16 v27, v12, 0xbb9c, v23
	v_add_f16_e32 v3, v3, v9
	v_fmac_f16_e32 v23, 0x3b9c, v12
	v_add_f16_e32 v9, v13, v6
	v_fma_f16 v22, v42, v35, -v22
	v_fmac_f16_e32 v26, 0x38b4, v12
	v_fmac_f16_e32 v30, 0xb8b4, v12
	v_add_f16_e32 v12, v6, v18
	v_fmac_f16_e32 v27, 0x38b4, v20
	v_fmac_f16_e32 v23, 0xb8b4, v20
	v_add_f16_e32 v9, v9, v18
	v_add_f16_e32 v13, v40, v25
	v_add_f16_e32 v21, v21, v14
	v_add_f16_e32 v15, v15, v31
	v_fma_f16 v12, -0.5, v12, v36
	v_sub_f16_e32 v14, v5, v22
	v_fmac_f16_e32 v27, 0x34f2, v3
	v_fmac_f16_e32 v23, 0x34f2, v3
	v_add_f16_e32 v3, v9, v25
	v_sub_f16_e32 v9, v8, v10
	v_fmac_f16_e32 v36, -0.5, v13
	v_fmac_f16_e32 v26, 0x34f2, v15
	v_fmac_f16_e32 v30, 0x34f2, v15
	v_fmamk_f16 v13, v14, 0xbb9c, v12
	v_sub_f16_e32 v15, v40, v6
	v_sub_f16_e32 v20, v25, v18
	v_fmac_f16_e32 v12, 0x3b9c, v14
	v_fmac_f16_e32 v28, 0x34f2, v29
	;; [unrolled: 1-line block ×3, first 2 shown]
	v_fmamk_f16 v29, v9, 0x3b9c, v36
	v_fmac_f16_e32 v36, 0xbb9c, v9
	v_sub_f16_e32 v31, v6, v40
	v_sub_f16_e32 v32, v18, v25
	v_fmac_f16_e32 v13, 0xb8b4, v9
	v_add_f16_e32 v15, v15, v20
	v_fmac_f16_e32 v12, 0x38b4, v9
	v_add_f16_e32 v9, v8, v10
	v_fmac_f16_e32 v29, 0xb8b4, v14
	v_fmac_f16_e32 v36, 0x38b4, v14
	v_add_f16_e32 v14, v5, v22
	v_add_f16_e32 v20, v31, v32
	v_fmac_f16_e32 v13, 0x34f2, v15
	v_fmac_f16_e32 v12, 0x34f2, v15
	v_fma_f16 v9, -0.5, v9, v24
	v_sub_f16_e32 v15, v40, v25
	v_add_f16_e32 v25, v24, v5
	v_sub_f16_e32 v6, v6, v18
	v_fmac_f16_e32 v24, -0.5, v14
	v_fmac_f16_e32 v29, 0x34f2, v20
	v_fmac_f16_e32 v36, 0x34f2, v20
	v_fmamk_f16 v14, v15, 0x3b9c, v9
	v_sub_f16_e32 v18, v5, v8
	v_sub_f16_e32 v20, v22, v10
	v_fmamk_f16 v31, v6, 0xbb9c, v24
	v_sub_f16_e32 v5, v8, v5
	v_sub_f16_e32 v32, v10, v22
	v_fmac_f16_e32 v24, 0x3b9c, v6
	v_fmac_f16_e32 v9, 0xbb9c, v15
	;; [unrolled: 1-line block ×3, first 2 shown]
	v_add_f16_e32 v18, v18, v20
	v_fmac_f16_e32 v31, 0x38b4, v15
	v_add_f16_e32 v5, v5, v32
	v_fmac_f16_e32 v24, 0xb8b4, v15
	v_fmac_f16_e32 v9, 0xb8b4, v6
	v_add_f16_e32 v8, v25, v8
	v_fmac_f16_e32 v14, 0x34f2, v18
	v_fmac_f16_e32 v31, 0x34f2, v5
	;; [unrolled: 1-line block ×4, first 2 shown]
	v_add_f16_e32 v5, v8, v10
	v_mul_f16_e32 v6, 0xb8b4, v14
	v_mul_f16_e32 v14, 0x3a79, v14
	;; [unrolled: 1-line block ×8, first 2 shown]
	v_add_f16_e32 v5, v5, v22
	v_fmac_f16_e32 v6, 0x3a79, v13
	v_fmac_f16_e32 v14, 0x38b4, v13
	;; [unrolled: 1-line block ×8, first 2 shown]
	v_add_f16_e32 v18, v11, v3
	v_add_f16_e32 v20, v17, v6
	v_add_f16_e32 v12, v21, v5
	v_add_f16_e32 v13, v26, v14
	v_add_f16_e32 v22, v28, v8
	v_add_f16_e32 v25, v2, v10
	v_add_f16_e32 v29, v27, v31
	v_add_f16_e32 v35, v23, v24
	v_add_f16_e32 v32, v19, v15
	v_add_f16_e32 v36, v30, v9
	v_sub_f16_e32 v3, v11, v3
	v_sub_f16_e32 v5, v21, v5
	;; [unrolled: 1-line block ×10, first 2 shown]
	v_pack_b32_f16 v12, v18, v12
	v_pack_b32_f16 v13, v20, v13
	;; [unrolled: 1-line block ×10, first 2 shown]
	ds_store_2addr_b32 v33, v12, v13 offset1:143
	ds_store_2addr_b32 v0, v17, v18 offset0:30 offset1:173
	ds_store_2addr_b32 v1, v19, v3 offset0:60 offset1:203
	;; [unrolled: 1-line block ×4, first 2 shown]
	global_wb scope:SCOPE_SE
	s_wait_dscnt 0x0
	s_barrier_signal -1
	s_barrier_wait -1
	global_inv scope:SCOPE_SE
	s_and_b32 exec_lo, exec_lo, vcc_lo
	s_cbranch_execz .LBB0_23
; %bb.22:
	s_clause 0x6
	global_load_b32 v2, v33, s[20:21]
	global_load_b32 v15, v33, s[20:21] offset:440
	global_load_b32 v21, v33, s[20:21] offset:880
	global_load_b32 v22, v33, s[20:21] offset:1320
	global_load_b32 v23, v33, s[20:21] offset:1760
	global_load_b32 v24, v33, s[20:21] offset:2200
	global_load_b32 v42, v33, s[20:21] offset:2640
	ds_load_b32 v17, v33
	ds_load_2addr_b32 v[5:6], v33 offset0:110 offset1:220
	ds_load_2addr_b32 v[9:10], v0 offset0:74 offset1:184
	v_mad_co_u64_u32 v[7:8], null, s6, v16, 0
	v_mad_co_u64_u32 v[11:12], null, s4, v34, 0
	ds_load_2addr_b32 v[0:1], v1 offset0:38 offset1:148
	s_mov_b32 s24, 0xd118b474
	s_mov_b32 s25, 0x3f46ea28
	s_mul_u64 s[22:23], s[4:5], 0x1b8
	v_dual_mov_b32 v3, v8 :: v_dual_mov_b32 v8, v12
	s_delay_alu instid0(VALU_DEP_1)
	v_mad_co_u64_u32 v[12:13], null, s7, v16, v[3:4]
	s_wait_dscnt 0x3
	v_lshrrev_b32_e32 v3, 16, v17
	s_wait_dscnt 0x2
	v_lshrrev_b32_e32 v16, 16, v5
	s_wait_dscnt 0x1
	v_mad_co_u64_u32 v[13:14], null, s5, v34, v[8:9]
	s_delay_alu instid0(VALU_DEP_4)
	v_mov_b32_e32 v8, v12
	v_lshrrev_b32_e32 v25, 16, v6
	v_lshrrev_b32_e32 v26, 16, v9
	;; [unrolled: 1-line block ×3, first 2 shown]
	s_wait_dscnt 0x0
	v_lshrrev_b32_e32 v28, 16, v0
	v_lshrrev_b32_e32 v43, 16, v1
	v_mov_b32_e32 v12, v13
	v_lshlrev_b64_e32 v[13:14], 2, v[7:8]
	s_wait_loadcnt 0x6
	v_lshrrev_b32_e32 v7, 16, v2
	s_wait_loadcnt 0x5
	v_lshrrev_b32_e32 v8, 16, v15
	;; [unrolled: 2-line block ×5, first 2 shown]
	v_mul_f16_e32 v30, v3, v7
	v_mul_f16_e32 v7, v17, v7
	;; [unrolled: 1-line block ×5, first 2 shown]
	v_fmac_f16_e32 v30, v17, v2
	v_mul_f16_e32 v17, v25, v18
	v_fma_f16 v7, v2, v3, -v7
	v_fmac_f16_e32 v31, v5, v15
	v_mul_f16_e32 v34, v26, v19
	v_cvt_f32_f16_e32 v18, v30
	v_fmac_f16_e32 v17, v6, v21
	v_cvt_f32_f16_e32 v5, v7
	v_fma_f16 v7, v15, v16, -v8
	v_cvt_f32_f16_e32 v6, v31
	v_cvt_f64_f32_e32 v[2:3], v18
	v_cvt_f32_f16_e32 v31, v17
	v_cvt_f64_f32_e32 v[15:16], v5
	;; [unrolled: 2-line block ×3, first 2 shown]
	v_mul_f16_e32 v35, v9, v19
	v_mul_f16_e32 v30, v27, v20
	;; [unrolled: 1-line block ×3, first 2 shown]
	v_cvt_f64_f32_e32 v[19:20], v5
	v_fma_f16 v5, v21, v25, -v32
	s_wait_loadcnt 0x1
	v_lshrrev_b32_e32 v29, 16, v24
	v_fmac_f16_e32 v34, v9, v22
	v_fmac_f16_e32 v30, v10, v23
	v_cvt_f64_f32_e32 v[9:10], v31
	v_cvt_f32_f16_e32 v5, v5
	v_mul_f16_e32 v8, v28, v29
	v_mul_f16_e32 v7, v0, v29
	v_fma_f16 v6, v22, v26, -v35
	v_cvt_f32_f16_e32 v25, v34
	v_cvt_f64_f32_e32 v[21:22], v5
	v_fmac_f16_e32 v8, v0, v24
	v_fma_f16 v0, v24, v28, -v7
	s_wait_loadcnt 0x0
	v_lshrrev_b32_e32 v40, 16, v42
	v_fma_f16 v26, v23, v27, -v36
	v_cvt_f64_f32_e32 v[23:24], v25
	v_cvt_f32_f16_e32 v5, v6
	v_cvt_f32_f16_e32 v0, v0
	v_mul_f16_e32 v29, v43, v40
	v_cvt_f32_f16_e32 v6, v30
	v_cvt_f32_f16_e32 v7, v26
	v_cvt_f64_f32_e32 v[25:26], v5
	v_cvt_f64_f32_e32 v[34:35], v0
	v_fmac_f16_e32 v29, v1, v42
	v_cvt_f64_f32_e32 v[27:28], v6
	v_cvt_f32_f16_e32 v8, v8
	v_add_co_u32 v0, vcc_lo, s8, v13
	s_delay_alu instid0(VALU_DEP_4)
	v_cvt_f32_f16_e32 v5, v29
	v_mul_f64_e32 v[38:39], s[24:25], v[2:3]
	v_lshlrev_b64_e32 v[2:3], 2, v[11:12]
	v_mul_f64_e32 v[11:12], s[24:25], v[15:16]
	v_cvt_f64_f32_e32 v[29:30], v7
	v_add_co_ci_u32_e32 v41, vcc_lo, s9, v14, vcc_lo
	v_mul_f64_e32 v[13:14], s[24:25], v[17:18]
	v_cvt_f64_f32_e32 v[31:32], v8
	v_mul_f64_e32 v[15:16], s[24:25], v[19:20]
	v_add_co_u32 v17, vcc_lo, v0, v2
	s_wait_alu 0xfffd
	v_add_co_ci_u32_e32 v18, vcc_lo, v41, v3, vcc_lo
	v_mul_f64_e32 v[9:10], s[24:25], v[9:10]
	s_delay_alu instid0(VALU_DEP_3) | instskip(SKIP_1) | instid1(VALU_DEP_3)
	v_add_co_u32 v19, vcc_lo, v17, s22
	s_wait_alu 0xfffd
	v_add_co_ci_u32_e32 v20, vcc_lo, s23, v18, vcc_lo
	v_mul_f16_e32 v0, v1, v40
	v_mul_f64_e32 v[21:22], s[24:25], v[21:22]
	v_add_co_u32 v40, vcc_lo, v19, s22
	s_wait_alu 0xfffd
	v_add_co_ci_u32_e32 v41, vcc_lo, s23, v20, vcc_lo
	v_mul_f64_e32 v[23:24], s[24:25], v[23:24]
	v_fma_f16 v0, v42, v43, -v0
	v_add_co_u32 v42, vcc_lo, v40, s22
	s_wait_alu 0xfffd
	v_add_co_ci_u32_e32 v43, vcc_lo, s23, v41, vcc_lo
	v_mul_f64_e32 v[25:26], s[24:25], v[25:26]
	v_mul_f64_e32 v[2:3], s[24:25], v[34:35]
	v_cvt_f64_f32_e32 v[36:37], v5
	v_mul_f64_e32 v[27:28], s[24:25], v[27:28]
	v_cvt_f32_f16_e32 v44, v0
	s_clause 0x3
	global_load_b32 v8, v33, s[20:21] offset:3080
	global_load_b32 v5, v33, s[20:21] offset:3520
	global_load_b32 v6, v33, s[20:21] offset:3960
	global_load_b32 v7, v33, s[20:21] offset:4400
	v_and_or_b32 v34, 0x1ff, v39, v38
	v_lshrrev_b32_e32 v35, 8, v39
	v_and_or_b32 v11, 0x1ff, v12, v11
	v_mul_f64_e32 v[29:30], s[24:25], v[29:30]
	v_lshrrev_b32_e32 v38, 8, v12
	v_cmp_ne_u32_e32 vcc_lo, 0, v34
	v_and_or_b32 v13, 0x1ff, v14, v13
	v_mul_f64_e32 v[31:32], s[24:25], v[31:32]
	v_and_or_b32 v15, 0x1ff, v16, v15
	v_lshrrev_b32_e32 v45, 8, v14
	s_wait_alu 0xfffd
	v_cndmask_b32_e64 v34, 0, 1, vcc_lo
	v_cmp_ne_u32_e32 vcc_lo, 0, v11
	v_bfe_u32 v46, v14, 20, 11
	v_and_or_b32 v9, 0x1ff, v10, v9
	v_bfe_u32 v48, v16, 20, 11
	v_and_or_b32 v34, 0xffe, v35, v34
	s_wait_alu 0xfffd
	v_cndmask_b32_e64 v11, 0, 1, vcc_lo
	v_cmp_ne_u32_e32 vcc_lo, 0, v13
	v_lshrrev_b32_e32 v47, 8, v16
	v_and_or_b32 v21, 0x1ff, v22, v21
	v_bfe_u32 v50, v10, 20, 11
	v_and_or_b32 v11, 0xffe, v38, v11
	s_wait_alu 0xfffd
	v_cndmask_b32_e64 v13, 0, 1, vcc_lo
	v_cmp_ne_u32_e32 vcc_lo, 0, v15
	v_and_or_b32 v23, 0x1ff, v24, v23
	v_bfe_u32 v52, v22, 20, 11
	v_sub_nc_u32_e32 v65, 0x3f1, v46
	v_sub_nc_u32_e32 v66, 0x3f1, v48
	s_wait_alu 0xfffd
	v_cndmask_b32_e64 v15, 0, 1, vcc_lo
	v_cmp_ne_u32_e32 vcc_lo, 0, v9
	v_and_or_b32 v25, 0x1ff, v26, v25
	v_and_or_b32 v13, 0xffe, v45, v13
	v_mul_f64_e32 v[0:1], s[24:25], v[36:37]
	v_and_or_b32 v27, 0x1ff, v28, v27
	s_wait_alu 0xfffd
	v_cndmask_b32_e64 v9, 0, 1, vcc_lo
	v_cmp_ne_u32_e32 vcc_lo, 0, v21
	v_bfe_u32 v36, v39, 20, 11
	v_lshrrev_b32_e32 v37, 16, v39
	v_bfe_u32 v39, v12, 20, 11
	v_lshrrev_b32_e32 v49, 8, v10
	s_wait_alu 0xfffd
	v_cndmask_b32_e64 v21, 0, 1, vcc_lo
	v_cmp_ne_u32_e32 vcc_lo, 0, v23
	v_and_or_b32 v29, 0x1ff, v30, v29
	v_sub_nc_u32_e32 v63, 0x3f1, v36
	v_add_nc_u32_e32 v36, 0xfffffc10, v36
	v_and_or_b32 v31, 0x1ff, v32, v31
	s_wait_alu 0xfffd
	v_cndmask_b32_e64 v23, 0, 1, vcc_lo
	v_cmp_ne_u32_e32 vcc_lo, 0, v25
	v_sub_nc_u32_e32 v64, 0x3f1, v39
	v_add_nc_u32_e32 v39, 0xfffffc10, v39
	v_med3_i32 v35, v63, 0, 13
	v_or_b32_e32 v63, 0x1000, v34
	s_wait_alu 0xfffd
	v_cndmask_b32_e64 v25, 0, 1, vcc_lo
	v_cmp_ne_u32_e32 vcc_lo, 0, v27
	v_med3_i32 v38, v64, 0, 13
	v_lshl_or_b32 v64, v36, 12, v34
	v_lshrrev_b32_e32 v51, 8, v22
	v_bfe_u32 v54, v24, 20, 11
	s_wait_alu 0xfffd
	v_cndmask_b32_e64 v27, 0, 1, vcc_lo
	v_cmp_ne_u32_e32 vcc_lo, 0, v29
	v_bfe_u32 v56, v26, 20, 11
	v_add_nc_u32_e32 v46, 0xfffffc10, v46
	v_sub_nc_u32_e32 v67, 0x3f1, v50
	v_sub_nc_u32_e32 v68, 0x3f1, v52
	s_wait_alu 0xfffd
	v_cndmask_b32_e64 v29, 0, 1, vcc_lo
	v_cmp_ne_u32_e32 vcc_lo, 0, v31
	v_med3_i32 v45, v65, 0, 13
	v_and_or_b32 v15, 0xffe, v47, v15
	v_med3_i32 v47, v66, 0, 13
	v_or_b32_e32 v65, 0x1000, v11
	s_wait_alu 0xfffd
	v_cndmask_b32_e64 v31, 0, 1, vcc_lo
	v_cmp_ne_u32_e32 vcc_lo, 0, v34
	v_lshl_or_b32 v66, v39, 12, v11
	v_lshrrev_b32_e32 v53, 8, v24
	v_lshrrev_b32_e32 v55, 8, v26
	v_bfe_u32 v58, v28, 20, 11
	s_wait_alu 0xfffd
	v_cndmask_b32_e64 v34, 0, 1, vcc_lo
	v_cmp_ne_u32_e32 vcc_lo, 0, v11
	v_bfe_u32 v60, v30, 20, 11
	v_add_nc_u32_e32 v48, 0xfffffc10, v48
	v_sub_nc_u32_e32 v69, 0x3f1, v54
	v_sub_nc_u32_e32 v70, 0x3f1, v56
	s_wait_alu 0xfffd
	v_cndmask_b32_e64 v11, 0, 1, vcc_lo
	v_cmp_ne_u32_e32 vcc_lo, 0, v13
	v_and_or_b32 v9, 0xffe, v49, v9
	v_med3_i32 v49, v67, 0, 13
	v_and_or_b32 v21, 0xffe, v51, v21
	v_med3_i32 v51, v68, 0, 13
	v_or_b32_e32 v67, 0x1000, v13
	v_lshl_or_b32 v68, v46, 12, v13
	s_wait_alu 0xfffd
	v_cndmask_b32_e64 v13, 0, 1, vcc_lo
	v_cmp_ne_u32_e32 vcc_lo, 0, v15
	v_lshrrev_b32_e32 v57, 8, v28
	v_lshrrev_b32_e32 v59, 8, v30
	v_bfe_u32 v62, v32, 20, 11
	v_add_nc_u32_e32 v50, 0xfffffc10, v50
	v_sub_nc_u32_e32 v71, 0x3f1, v58
	v_sub_nc_u32_e32 v72, 0x3f1, v60
	v_and_or_b32 v23, 0xffe, v53, v23
	v_med3_i32 v53, v69, 0, 13
	v_and_or_b32 v25, 0xffe, v55, v25
	v_med3_i32 v55, v70, 0, 13
	v_or_b32_e32 v69, 0x1000, v15
	v_lshl_or_b32 v70, v48, 12, v15
	s_wait_alu 0xfffd
	v_cndmask_b32_e64 v15, 0, 1, vcc_lo
	v_cmp_ne_u32_e32 vcc_lo, 0, v9
	v_lshrrev_b32_e32 v61, 8, v32
	v_add_nc_u32_e32 v52, 0xfffffc10, v52
	v_sub_nc_u32_e32 v73, 0x3f1, v62
	v_and_or_b32 v27, 0xffe, v57, v27
	v_med3_i32 v57, v71, 0, 13
	v_and_or_b32 v29, 0xffe, v59, v29
	v_med3_i32 v59, v72, 0, 13
	v_or_b32_e32 v71, 0x1000, v9
	v_lshl_or_b32 v72, v50, 12, v9
	s_wait_alu 0xfffd
	v_cndmask_b32_e64 v9, 0, 1, vcc_lo
	v_cmp_ne_u32_e32 vcc_lo, 0, v21
	v_add_nc_u32_e32 v54, 0xfffffc10, v54
	v_and_or_b32 v31, 0xffe, v61, v31
	v_med3_i32 v61, v73, 0, 13
	v_or_b32_e32 v73, 0x1000, v21
	v_lshl_or_b32 v74, v52, 12, v21
	s_wait_alu 0xfffd
	v_cndmask_b32_e64 v21, 0, 1, vcc_lo
	v_cmp_ne_u32_e32 vcc_lo, 0, v23
	v_add_nc_u32_e32 v56, 0xfffffc10, v56
	v_or_b32_e32 v75, 0x1000, v23
	v_lshl_or_b32 v76, v54, 12, v23
	v_add_nc_u32_e32 v58, 0xfffffc10, v58
	s_wait_alu 0xfffd
	v_cndmask_b32_e64 v23, 0, 1, vcc_lo
	v_cmp_ne_u32_e32 vcc_lo, 0, v25
	v_or_b32_e32 v77, 0x1000, v25
	v_lshl_or_b32 v78, v56, 12, v25
	v_lshrrev_b32_e32 v85, v35, v63
	v_add_nc_u32_e32 v60, 0xfffffc10, v60
	s_wait_alu 0xfffd
	v_cndmask_b32_e64 v25, 0, 1, vcc_lo
	v_cmp_ne_u32_e32 vcc_lo, 0, v27
	v_or_b32_e32 v79, 0x1000, v27
	v_lshl_or_b32 v80, v58, 12, v27
	v_lshrrev_b32_e32 v86, v38, v65
	v_lshlrev_b32_e32 v35, v35, v85
	s_wait_alu 0xfffd
	v_cndmask_b32_e64 v27, 0, 1, vcc_lo
	v_cmp_ne_u32_e32 vcc_lo, 0, v29
	v_or_b32_e32 v81, 0x1000, v29
	v_lshl_or_b32 v82, v60, 12, v29
	v_lshlrev_b32_e32 v38, v38, v86
	v_lshrrev_b32_e32 v87, v45, v67
	s_wait_alu 0xfffd
	v_cndmask_b32_e64 v29, 0, 1, vcc_lo
	v_cmp_ne_u32_e32 vcc_lo, v35, v63
	v_lshrrev_b32_e32 v88, v47, v69
	v_lshrrev_b32_e32 v89, v49, v71
	v_lshl_or_b32 v34, v34, 9, 0x7c00
	v_lshrrev_b32_e32 v90, v51, v73
	s_wait_alu 0xfffd
	v_cndmask_b32_e64 v35, 0, 1, vcc_lo
	v_cmp_ne_u32_e32 vcc_lo, v38, v65
	v_lshlrev_b32_e32 v47, v47, v88
	v_lshlrev_b32_e32 v49, v49, v89
	v_lshrrev_b32_e32 v91, v53, v75
	v_lshlrev_b32_e32 v51, v51, v90
	s_wait_alu 0xfffd
	v_cndmask_b32_e64 v38, 0, 1, vcc_lo
	v_lshrrev_b32_e32 v92, v55, v77
	v_lshrrev_b32_e32 v93, v57, v79
	v_lshlrev_b32_e32 v53, v53, v91
	v_or_b32_e32 v83, 0x1000, v31
	v_or_b32_e32 v38, v86, v38
	v_lshlrev_b32_e32 v45, v45, v87
	v_lshlrev_b32_e32 v55, v55, v92
	v_lshrrev_b32_e32 v94, v59, v81
	v_lshlrev_b32_e32 v57, v57, v93
	v_lshrrev_b32_e32 v95, v61, v83
	v_cmp_ne_u32_e32 vcc_lo, v45, v67
	v_or_b32_e32 v35, v85, v35
	v_lshlrev_b32_e32 v59, v59, v94
	v_lshl_or_b32 v13, v13, 9, 0x7c00
	v_lshlrev_b32_e32 v61, v61, v95
	s_wait_alu 0xfffd
	v_cndmask_b32_e64 v45, 0, 1, vcc_lo
	v_cmp_ne_u32_e32 vcc_lo, v47, v69
	v_lshl_or_b32 v11, v11, 9, 0x7c00
	v_lshl_or_b32 v15, v15, 9, 0x7c00
	;; [unrolled: 1-line block ×3, first 2 shown]
	v_or_b32_e32 v45, v87, v45
	s_wait_alu 0xfffd
	v_cndmask_b32_e64 v47, 0, 1, vcc_lo
	v_cmp_ne_u32_e32 vcc_lo, v49, v71
	v_lshl_or_b32 v21, v21, 9, 0x7c00
	v_lshl_or_b32 v23, v23, 9, 0x7c00
	v_lshrrev_b32_e32 v12, 16, v12
	v_or_b32_e32 v47, v88, v47
	s_wait_alu 0xfffd
	v_cndmask_b32_e64 v49, 0, 1, vcc_lo
	v_cmp_ne_u32_e32 vcc_lo, v51, v73
	v_lshrrev_b32_e32 v14, 16, v14
	v_lshrrev_b32_e32 v24, 16, v24
	;; [unrolled: 1-line block ×3, first 2 shown]
	v_or_b32_e32 v49, v89, v49
	s_wait_alu 0xfffd
	v_cndmask_b32_e64 v51, 0, 1, vcc_lo
	v_cmp_ne_u32_e32 vcc_lo, v53, v75
	v_lshrrev_b32_e32 v16, 16, v16
	v_lshrrev_b32_e32 v22, 16, v22
	v_lshl_or_b32 v25, v25, 9, 0x7c00
	v_or_b32_e32 v51, v90, v51
	s_wait_alu 0xfffd
	v_cndmask_b32_e64 v53, 0, 1, vcc_lo
	v_cmp_ne_u32_e32 vcc_lo, v55, v77
	v_lshl_or_b32 v27, v27, 9, 0x7c00
	v_lshrrev_b32_e32 v26, 16, v26
	v_lshrrev_b32_e32 v28, 16, v28
	v_or_b32_e32 v53, v91, v53
	s_wait_alu 0xfffd
	v_cndmask_b32_e64 v55, 0, 1, vcc_lo
	v_cmp_ne_u32_e32 vcc_lo, v57, v79
	v_lshl_or_b32 v29, v29, 9, 0x7c00
	v_and_or_b32 v2, 0x1ff, v3, v2
	v_lshrrev_b32_e32 v30, 16, v30
	v_or_b32_e32 v55, v92, v55
	s_wait_alu 0xfffd
	v_cndmask_b32_e64 v57, 0, 1, vcc_lo
	v_cmp_ne_u32_e32 vcc_lo, v59, v81
	v_and_or_b32 v0, 0x1ff, v1, v0
	s_delay_alu instid0(VALU_DEP_3) | instskip(SKIP_3) | instid1(VALU_DEP_2)
	v_or_b32_e32 v57, v93, v57
	s_wait_alu 0xfffd
	v_cndmask_b32_e64 v59, 0, 1, vcc_lo
	v_cmp_ne_u32_e32 vcc_lo, v61, v83
	v_or_b32_e32 v59, v94, v59
	s_wait_alu 0xfffd
	v_cndmask_b32_e64 v61, 0, 1, vcc_lo
	v_cmp_gt_i32_e32 vcc_lo, 1, v36
	s_delay_alu instid0(VALU_DEP_2)
	v_or_b32_e32 v61, v95, v61
	s_wait_alu 0xfffd
	v_cndmask_b32_e32 v35, v64, v35, vcc_lo
	v_cmp_gt_i32_e32 vcc_lo, 1, v39
	v_add_nc_u32_e32 v62, 0xfffffc10, v62
	s_wait_alu 0xfffd
	s_delay_alu instid0(VALU_DEP_3) | instskip(SKIP_1) | instid1(VALU_DEP_3)
	v_dual_cndmask_b32 v38, v66, v38 :: v_dual_and_b32 v63, 7, v35
	v_cmp_gt_i32_e32 vcc_lo, 1, v46
	v_lshl_or_b32 v84, v62, 12, v31
	v_lshrrev_b32_e32 v35, 2, v35
	s_delay_alu instid0(VALU_DEP_4) | instskip(SKIP_4) | instid1(VALU_DEP_3)
	v_cmp_eq_u32_e64 s0, 3, v63
	s_wait_alu 0xfffd
	v_dual_cndmask_b32 v45, v68, v45 :: v_dual_and_b32 v64, 7, v38
	v_cmp_gt_i32_e32 vcc_lo, 1, v48
	v_lshrrev_b32_e32 v38, 2, v38
	v_cmp_lt_i32_e64 s1, 5, v64
	s_delay_alu instid0(VALU_DEP_4)
	v_and_b32_e32 v65, 7, v45
	s_wait_alu 0xfffd
	v_cndmask_b32_e32 v47, v70, v47, vcc_lo
	v_cmp_gt_i32_e32 vcc_lo, 1, v50
	v_cmp_eq_u32_e64 s2, 3, v64
	v_lshrrev_b32_e32 v45, 2, v45
	v_cmp_lt_i32_e64 s3, 5, v65
	s_wait_alu 0xfffd
	v_dual_cndmask_b32 v49, v72, v49 :: v_dual_and_b32 v66, 7, v47
	v_cmp_gt_i32_e32 vcc_lo, 1, v52
	v_cmp_eq_u32_e64 s4, 3, v65
	v_lshrrev_b32_e32 v47, 2, v47
	s_delay_alu instid0(VALU_DEP_4)
	v_cmp_lt_i32_e64 s5, 5, v66
	v_and_b32_e32 v67, 7, v49
	s_wait_alu 0xfffd
	v_cndmask_b32_e32 v51, v74, v51, vcc_lo
	v_cmp_gt_i32_e32 vcc_lo, 1, v54
	v_cmp_eq_u32_e64 s6, 3, v66
	v_lshrrev_b32_e32 v49, 2, v49
	v_cmp_lt_i32_e64 s7, 5, v67
	s_wait_alu 0xfffd
	v_dual_cndmask_b32 v53, v76, v53 :: v_dual_and_b32 v68, 7, v51
	v_cmp_gt_i32_e32 vcc_lo, 1, v56
	v_cmp_eq_u32_e64 s8, 3, v67
	v_lshrrev_b32_e32 v51, 2, v51
	s_delay_alu instid0(VALU_DEP_4)
	v_cmp_lt_i32_e64 s9, 5, v68
	;; [unrolled: 14-line block ×3, first 2 shown]
	v_and_b32_e32 v71, 7, v57
	s_wait_alu 0xfffd
	v_cndmask_b32_e32 v59, v82, v59, vcc_lo
	v_cmp_gt_i32_e32 vcc_lo, 1, v62
	v_cmp_eq_u32_e64 s14, 3, v70
	v_lshrrev_b32_e32 v57, 2, v57
	v_cmp_lt_i32_e64 s15, 5, v71
	s_wait_alu 0xfffd
	v_dual_cndmask_b32 v61, v84, v61 :: v_dual_and_b32 v72, 7, v59
	v_cmp_lt_i32_e32 vcc_lo, 5, v63
	v_cmp_eq_u32_e64 s16, 3, v71
	v_lshrrev_b32_e32 v59, 2, v59
	s_delay_alu instid0(VALU_DEP_4)
	v_cmp_lt_i32_e64 s17, 5, v72
	v_cmp_eq_u32_e64 s18, 3, v72
	s_or_b32 vcc_lo, s0, vcc_lo
	v_cmp_ne_u32_e64 s0, 0, v2
	s_wait_alu 0xfffe
	v_add_co_ci_u32_e32 v35, vcc_lo, 0, v35, vcc_lo
	s_or_b32 vcc_lo, s2, s1
	s_wait_alu 0xfffe
	v_add_co_ci_u32_e32 v38, vcc_lo, 0, v38, vcc_lo
	s_or_b32 vcc_lo, s4, s3
	v_cndmask_b32_e64 v2, 0, 1, s0
	s_wait_alu 0xfffe
	v_add_co_ci_u32_e32 v45, vcc_lo, 0, v45, vcc_lo
	s_or_b32 vcc_lo, s6, s5
	s_wait_alu 0xfffe
	v_add_co_ci_u32_e32 v47, vcc_lo, 0, v47, vcc_lo
	s_or_b32 vcc_lo, s8, s7
	s_wait_alu 0xfffe
	v_add_co_ci_u32_e32 v49, vcc_lo, 0, v49, vcc_lo
	s_or_b32 vcc_lo, s10, s9
	s_wait_alu 0xfffe
	v_add_co_ci_u32_e32 v51, vcc_lo, 0, v51, vcc_lo
	s_or_b32 vcc_lo, s12, s11
	s_wait_alu 0xfffe
	v_add_co_ci_u32_e32 v53, vcc_lo, 0, v53, vcc_lo
	s_or_b32 vcc_lo, s14, s13
	s_wait_alu 0xfffe
	v_add_co_ci_u32_e32 v55, vcc_lo, 0, v55, vcc_lo
	s_or_b32 vcc_lo, s16, s15
	s_wait_alu 0xfffe
	v_add_co_ci_u32_e32 v57, vcc_lo, 0, v57, vcc_lo
	s_or_b32 vcc_lo, s18, s17
	s_wait_alu 0xfffe
	v_add_co_ci_u32_e32 v59, vcc_lo, 0, v59, vcc_lo
	v_cmp_gt_i32_e32 vcc_lo, 31, v36
	s_wait_alu 0xfffd
	v_cndmask_b32_e32 v35, 0x7c00, v35, vcc_lo
	v_cmp_gt_i32_e32 vcc_lo, 31, v39
	s_wait_alu 0xfffd
	v_cndmask_b32_e32 v38, 0x7c00, v38, vcc_lo
	v_cmp_gt_i32_e32 vcc_lo, 31, v46
	s_wait_alu 0xfffd
	v_cndmask_b32_e32 v45, 0x7c00, v45, vcc_lo
	v_cmp_gt_i32_e32 vcc_lo, 31, v48
	s_wait_alu 0xfffd
	v_cndmask_b32_e32 v47, 0x7c00, v47, vcc_lo
	v_cmp_gt_i32_e32 vcc_lo, 31, v50
	s_wait_alu 0xfffd
	v_cndmask_b32_e32 v49, 0x7c00, v49, vcc_lo
	v_cmp_gt_i32_e32 vcc_lo, 31, v52
	s_wait_alu 0xfffd
	v_cndmask_b32_e32 v51, 0x7c00, v51, vcc_lo
	v_cmp_gt_i32_e32 vcc_lo, 31, v54
	s_wait_alu 0xfffd
	v_cndmask_b32_e32 v53, 0x7c00, v53, vcc_lo
	v_cmp_gt_i32_e32 vcc_lo, 31, v56
	s_wait_alu 0xfffd
	v_cndmask_b32_e32 v55, 0x7c00, v55, vcc_lo
	v_cmp_gt_i32_e32 vcc_lo, 31, v58
	s_wait_alu 0xfffd
	v_cndmask_b32_e32 v57, 0x7c00, v57, vcc_lo
	v_cmp_gt_i32_e32 vcc_lo, 31, v60
	s_wait_alu 0xfffd
	v_cndmask_b32_e32 v59, 0x7c00, v59, vcc_lo
	v_cmp_eq_u32_e32 vcc_lo, 0x40f, v36
	s_wait_alu 0xfffd
	v_cndmask_b32_e32 v34, v35, v34, vcc_lo
	v_cmp_eq_u32_e32 vcc_lo, 0x40f, v39
	s_delay_alu instid0(VALU_DEP_2) | instskip(SKIP_3) | instid1(VALU_DEP_2)
	v_and_or_b32 v34, 0x8000, v37, v34
	s_wait_alu 0xfffd
	v_cndmask_b32_e32 v11, v38, v11, vcc_lo
	v_cmp_eq_u32_e32 vcc_lo, 0x40f, v46
	v_and_or_b32 v11, 0x8000, v12, v11
	s_wait_alu 0xfffd
	v_cndmask_b32_e32 v13, v45, v13, vcc_lo
	v_cmp_eq_u32_e32 vcc_lo, 0x40f, v48
	s_delay_alu instid0(VALU_DEP_2)
	v_and_or_b32 v12, 0x8000, v14, v13
	s_wait_alu 0xfffd
	v_cndmask_b32_e32 v15, v47, v15, vcc_lo
	v_cmp_eq_u32_e32 vcc_lo, 0x40f, v50
	s_wait_alu 0xfffd
	v_dual_cndmask_b32 v9, v49, v9 :: v_dual_and_b32 v12, 0xffff, v12
	v_cmp_eq_u32_e32 vcc_lo, 0x40f, v52
	s_delay_alu instid0(VALU_DEP_2) | instskip(SKIP_3) | instid1(VALU_DEP_3)
	v_and_or_b32 v9, 0x8000, v10, v9
	s_wait_alu 0xfffd
	v_cndmask_b32_e32 v21, v51, v21, vcc_lo
	v_cmp_eq_u32_e32 vcc_lo, 0x40f, v54
	v_and_b32_e32 v9, 0xffff, v9
	s_delay_alu instid0(VALU_DEP_3)
	v_and_or_b32 v10, 0x8000, v22, v21
	s_wait_alu 0xfffd
	v_cndmask_b32_e32 v23, v53, v23, vcc_lo
	v_cmp_eq_u32_e32 vcc_lo, 0x40f, v56
	s_wait_loadcnt 0x3
	v_lshrrev_b32_e32 v21, 16, v8
	v_lshl_or_b32 v9, v10, 16, v9
	v_and_or_b32 v14, 0x8000, v24, v23
	s_wait_alu 0xfffd
	v_cndmask_b32_e32 v25, v55, v25, vcc_lo
	v_cmp_eq_u32_e32 vcc_lo, 0x40f, v58
	s_delay_alu instid0(VALU_DEP_3)
	v_and_b32_e32 v14, 0xffff, v14
	v_and_or_b32 v13, 0x8000, v16, v15
	v_and_b32_e32 v15, 0xffff, v34
	s_wait_alu 0xfffd
	v_cndmask_b32_e32 v27, v57, v27, vcc_lo
	v_cmp_eq_u32_e32 vcc_lo, 0x40f, v60
	v_and_or_b32 v16, 0x8000, v26, v25
	v_lshl_or_b32 v12, v13, 16, v12
	v_lshl_or_b32 v11, v11, 16, v15
	s_clause 0x2
	global_store_b32 v[17:18], v11, off
	global_store_b32 v[19:20], v12, off
	;; [unrolled: 1-line block ×3, first 2 shown]
	v_cvt_f64_f32_e32 v[11:12], v44
	s_wait_alu 0xfffd
	v_cndmask_b32_e32 v29, v59, v29, vcc_lo
	v_and_or_b32 v13, 0x8000, v28, v27
	v_lshl_or_b32 v14, v16, 16, v14
	v_and_b32_e32 v15, 7, v61
	ds_load_2addr_b32 v[9:10], v4 offset0:2 offset1:112
	v_and_or_b32 v4, 0x8000, v30, v29
	v_and_b32_e32 v13, 0xffff, v13
	global_store_b32 v[42:43], v14, off
	v_cmp_lt_i32_e32 vcc_lo, 5, v15
	v_lshrrev_b32_e32 v14, 8, v3
	v_bfe_u32 v16, v3, 20, 11
	v_cmp_eq_u32_e64 s0, 3, v15
	v_lshl_or_b32 v4, v4, 16, v13
	v_lshrrev_b32_e32 v13, 2, v61
	v_and_or_b32 v2, 0xffe, v14, v2
	v_sub_nc_u32_e32 v14, 0x3f1, v16
	s_or_b32 vcc_lo, s0, vcc_lo
	v_lshrrev_b32_e32 v25, 8, v1
	s_wait_alu 0xfffe
	v_add_co_ci_u32_e32 v15, vcc_lo, 0, v13, vcc_lo
	v_add_co_u32 v13, vcc_lo, v42, s22
	v_med3_i32 v18, v14, 0, 13
	s_wait_alu 0xfffd
	v_add_co_ci_u32_e32 v14, vcc_lo, s23, v43, vcc_lo
	v_or_b32_e32 v17, 0x1000, v2
	v_cmp_gt_i32_e32 vcc_lo, 31, v62
	s_wait_dscnt 0x0
	v_lshrrev_b32_e32 v19, 16, v9
	v_bfe_u32 v26, v1, 20, 11
	global_load_b32 v20, v33, s[20:21] offset:4840
	v_lshrrev_b32_e32 v23, v18, v17
	s_wait_alu 0xfffd
	v_cndmask_b32_e32 v22, 0x7c00, v15, vcc_lo
	v_cmp_ne_u32_e32 vcc_lo, 0, v31
	v_mul_f16_e32 v15, v19, v21
	global_store_b32 v[13:14], v4, off
	v_lshlrev_b32_e32 v18, v18, v23
	v_mul_f16_e32 v4, v9, v21
	s_wait_alu 0xfffd
	v_cndmask_b32_e64 v24, 0, 1, vcc_lo
	v_cmp_ne_u32_e32 vcc_lo, 0, v0
	v_fmac_f16_e32 v15, v9, v8
	v_mul_f64_e32 v[11:12], s[24:25], v[11:12]
	v_fma_f16 v4, v8, v19, -v4
	v_lshl_or_b32 v24, v24, 9, 0x7c00
	s_wait_alu 0xfffd
	v_cndmask_b32_e64 v0, 0, 1, vcc_lo
	v_cmp_ne_u32_e32 vcc_lo, v18, v17
	v_cvt_f32_f16_e32 v15, v15
	v_add_nc_u32_e32 v18, 0xfffffc10, v16
	v_cvt_f32_f16_e32 v4, v4
	v_and_or_b32 v0, 0xffe, v25, v0
	s_wait_alu 0xfffd
	v_cndmask_b32_e64 v17, 0, 1, vcc_lo
	v_cvt_f64_f32_e32 v[15:16], v15
	v_sub_nc_u32_e32 v25, 0x3f1, v26
	v_cmp_gt_i32_e32 vcc_lo, 1, v18
	v_or_b32_e32 v27, 0x1000, v0
	v_or_b32_e32 v17, v23, v17
	v_lshl_or_b32 v23, v18, 12, v2
	v_med3_i32 v25, v25, 0, 13
	v_lshrrev_b32_e32 v3, 16, v3
	s_wait_alu 0xfffd
	s_delay_alu instid0(VALU_DEP_3) | instskip(SKIP_2) | instid1(VALU_DEP_3)
	v_cndmask_b32_e32 v17, v23, v17, vcc_lo
	v_cmp_eq_u32_e32 vcc_lo, 0x40f, v62
	v_lshrrev_b32_e32 v23, 16, v32
	v_and_b32_e32 v28, 7, v17
	s_wait_alu 0xfffd
	v_cndmask_b32_e32 v22, v22, v24, vcc_lo
	v_lshrrev_b32_e32 v24, v25, v27
	v_lshrrev_b32_e32 v8, 2, v17
	v_add_nc_u32_e32 v17, 0xfffffc10, v26
	v_cmp_lt_i32_e32 vcc_lo, 5, v28
	v_cmp_eq_u32_e64 s0, 3, v28
	v_lshlrev_b32_e32 v9, v25, v24
	v_and_or_b32 v21, 0x8000, v23, v22
	v_lshl_or_b32 v23, v17, 12, v0
	s_delay_alu instid0(VALU_DEP_4) | instskip(NEXT) | instid1(VALU_DEP_3)
	s_or_b32 vcc_lo, s0, vcc_lo
	v_cmp_ne_u32_e64 s1, v9, v27
	s_wait_alu 0xfffe
	v_add_co_ci_u32_e32 v19, vcc_lo, 0, v8, vcc_lo
	v_cmp_ne_u32_e32 vcc_lo, 0, v2
	v_and_or_b32 v11, 0x1ff, v12, v11
	s_wait_alu 0xf1ff
	v_cndmask_b32_e64 v9, 0, 1, s1
	v_cmp_eq_u32_e64 s1, 0x40f, v18
	v_and_b32_e32 v21, 0xffff, v21
	s_wait_alu 0xfffd
	v_cndmask_b32_e64 v2, 0, 1, vcc_lo
	v_cmp_gt_i32_e32 vcc_lo, 1, v17
	v_or_b32_e32 v22, v24, v9
	v_cvt_f64_f32_e32 v[8:9], v4
	v_mul_f64_e32 v[15:16], s[24:25], v[15:16]
	v_lshl_or_b32 v2, v2, 9, 0x7c00
	s_wait_alu 0xfffd
	v_cndmask_b32_e32 v4, v23, v22, vcc_lo
	v_cmp_ne_u32_e32 vcc_lo, 0, v11
	v_lshrrev_b32_e32 v22, 8, v12
	v_bfe_u32 v23, v12, 20, 11
	v_lshrrev_b32_e32 v12, 16, v12
	v_and_b32_e32 v24, 7, v4
	s_wait_alu 0xfffd
	v_cndmask_b32_e64 v11, 0, 1, vcc_lo
	v_cmp_gt_i32_e32 vcc_lo, 31, v18
	v_lshrrev_b32_e32 v4, 2, v4
	v_cmp_eq_u32_e64 s0, 3, v24
	s_delay_alu instid0(VALU_DEP_4)
	v_and_or_b32 v11, 0xffe, v22, v11
	v_sub_nc_u32_e32 v22, 0x3f1, v23
	s_wait_alu 0xfffd
	v_cndmask_b32_e32 v19, 0x7c00, v19, vcc_lo
	v_cmp_lt_i32_e32 vcc_lo, 5, v24
	v_add_nc_u32_e32 v23, 0xfffffc10, v23
	v_or_b32_e32 v24, 0x1000, v11
	v_med3_i32 v22, v22, 0, 13
	s_wait_alu 0xf1ff
	v_cndmask_b32_e64 v2, v19, v2, s1
	s_or_b32 vcc_lo, s0, vcc_lo
	s_wait_alu 0xfffe
	v_add_co_ci_u32_e32 v4, vcc_lo, 0, v4, vcc_lo
	v_lshrrev_b32_e32 v18, v22, v24
	v_cmp_gt_i32_e32 vcc_lo, 31, v17
	v_and_or_b32 v19, 0x8000, v3, v2
	s_delay_alu instid0(VALU_DEP_3)
	v_lshlrev_b32_e32 v2, v22, v18
	s_wait_alu 0xfffd
	v_cndmask_b32_e32 v4, 0x7c00, v4, vcc_lo
	v_cmp_ne_u32_e32 vcc_lo, 0, v0
	s_wait_alu 0xfffd
	v_cndmask_b32_e64 v0, 0, 1, vcc_lo
	v_cmp_ne_u32_e32 vcc_lo, v2, v24
	v_mul_f64_e32 v[2:3], s[24:25], v[8:9]
	v_lshrrev_b32_e32 v8, 16, v10
	s_wait_loadcnt 0x3
	v_lshrrev_b32_e32 v9, 16, v5
	v_and_or_b32 v15, 0x1ff, v16, v15
	s_wait_alu 0xfffd
	v_cndmask_b32_e64 v22, 0, 1, vcc_lo
	v_cmp_gt_i32_e32 vcc_lo, 1, v23
	v_lshl_or_b32 v0, v0, 9, 0x7c00
	v_mul_f16_e32 v24, v8, v9
	v_bfe_u32 v25, v16, 20, 11
	v_or_b32_e32 v18, v18, v22
	v_lshl_or_b32 v22, v23, 12, v11
	v_mul_f16_e32 v9, v10, v9
	v_fmac_f16_e32 v24, v10, v5
	s_wait_alu 0xfffd
	s_delay_alu instid0(VALU_DEP_3)
	v_cndmask_b32_e32 v18, v22, v18, vcc_lo
	v_cmp_ne_u32_e32 vcc_lo, 0, v15
	v_lshrrev_b32_e32 v22, 8, v16
	v_fma_f16 v5, v5, v8, -v9
	s_wait_alu 0xfffd
	v_cndmask_b32_e64 v15, 0, 1, vcc_lo
	v_cmp_eq_u32_e32 vcc_lo, 0x40f, v17
	v_and_b32_e32 v17, 7, v18
	v_lshrrev_b32_e32 v18, 2, v18
	s_delay_alu instid0(VALU_DEP_4)
	v_and_or_b32 v15, 0xffe, v22, v15
	s_wait_alu 0xfffd
	v_cndmask_b32_e32 v4, v4, v0, vcc_lo
	v_cvt_f32_f16_e32 v0, v24
	v_sub_nc_u32_e32 v22, 0x3f1, v25
	v_cmp_lt_i32_e32 vcc_lo, 5, v17
	v_cmp_eq_u32_e64 s0, 3, v17
	v_lshrrev_b32_e32 v24, 16, v1
	v_cvt_f64_f32_e32 v[0:1], v0
	v_or_b32_e32 v26, 0x1000, v15
	v_med3_i32 v22, v22, 0, 13
	s_or_b32 vcc_lo, s0, vcc_lo
	v_lshl_or_b32 v17, v19, 16, v21
	s_wait_alu 0xfffe
	v_add_co_ci_u32_e32 v18, vcc_lo, 0, v18, vcc_lo
	v_and_or_b32 v19, 0x8000, v24, v4
	v_lshrrev_b32_e32 v4, v22, v26
	v_cmp_ne_u32_e32 vcc_lo, 0, v11
	v_and_or_b32 v2, 0x1ff, v3, v2
	v_bfe_u32 v24, v3, 20, 11
	v_lshrrev_b32_e32 v10, 8, v3
	v_lshlrev_b32_e32 v21, v22, v4
	s_wait_alu 0xfffd
	v_cndmask_b32_e64 v11, 0, 1, vcc_lo
	v_cmp_gt_i32_e32 vcc_lo, 31, v23
	v_add_nc_u32_e32 v22, 0xfffffc10, v25
	v_sub_nc_u32_e32 v8, 0x3f1, v24
	s_delay_alu instid0(VALU_DEP_4)
	v_lshl_or_b32 v11, v11, 9, 0x7c00
	s_wait_alu 0xfffd
	v_cndmask_b32_e32 v18, 0x7c00, v18, vcc_lo
	v_cmp_ne_u32_e32 vcc_lo, v21, v26
	v_med3_i32 v26, v8, 0, 13
	v_add_nc_u32_e32 v8, 0xe00, v33
	s_wait_alu 0xfffd
	v_cndmask_b32_e64 v21, 0, 1, vcc_lo
	v_cmp_ne_u32_e32 vcc_lo, 0, v2
	ds_load_2addr_b32 v[8:9], v8 offset0:94 offset1:204
	v_or_b32_e32 v4, v4, v21
	s_wait_alu 0xfffd
	v_cndmask_b32_e64 v2, 0, 1, vcc_lo
	v_lshl_or_b32 v21, v22, 12, v15
	v_cmp_gt_i32_e32 vcc_lo, 1, v22
	s_delay_alu instid0(VALU_DEP_3)
	v_and_or_b32 v2, 0xffe, v10, v2
	v_mul_f64_e32 v[0:1], s[24:25], v[0:1]
	s_wait_alu 0xfffd
	v_cndmask_b32_e32 v21, v21, v4, vcc_lo
	v_cvt_f32_f16_e32 v4, v5
	v_cmp_eq_u32_e32 vcc_lo, 0x40f, v23
	v_or_b32_e32 v25, 0x1000, v2
	s_delay_alu instid0(VALU_DEP_4) | instskip(NEXT) | instid1(VALU_DEP_4)
	v_and_b32_e32 v23, 7, v21
	v_cvt_f64_f32_e32 v[4:5], v4
	s_wait_alu 0xfffd
	v_cndmask_b32_e32 v18, v18, v11, vcc_lo
	v_lshrrev_b32_e32 v27, v26, v25
	v_add_co_u32 v10, vcc_lo, v13, s22
	s_wait_alu 0xfffd
	v_add_co_ci_u32_e32 v11, vcc_lo, s23, v14, vcc_lo
	v_and_or_b32 v14, 0x8000, v12, v18
	v_lshlrev_b32_e32 v12, v26, v27
	v_cmp_lt_i32_e32 vcc_lo, 5, v23
	v_cmp_eq_u32_e64 s0, 3, v23
	v_lshrrev_b32_e32 v13, 2, v21
	v_and_b32_e32 v18, 0xffff, v19
	v_cmp_ne_u32_e64 s1, v12, v25
	v_add_nc_u32_e32 v19, 0xfffffc10, v24
	s_or_b32 vcc_lo, s0, vcc_lo
	s_wait_dscnt 0x0
	v_lshrrev_b32_e32 v21, 16, v8
	s_wait_alu 0xfffe
	v_add_co_ci_u32_e32 v13, vcc_lo, 0, v13, vcc_lo
	v_cndmask_b32_e64 v12, 0, 1, s1
	s_wait_loadcnt 0x2
	v_lshrrev_b32_e32 v23, 16, v6
	v_cmp_ne_u32_e32 vcc_lo, 0, v15
	v_lshl_or_b32 v24, v19, 12, v2
	v_lshl_or_b32 v18, v14, 16, v18
	v_or_b32_e32 v12, v27, v12
	v_mul_f16_e32 v25, v21, v23
	s_wait_alu 0xfffd
	v_cndmask_b32_e64 v15, 0, 1, vcc_lo
	v_cmp_gt_i32_e32 vcc_lo, 1, v19
	s_delay_alu instid0(VALU_DEP_3)
	v_fmac_f16_e32 v25, v8, v6
	v_and_or_b32 v0, 0x1ff, v1, v0
	s_wait_alu 0xfffd
	v_cndmask_b32_e32 v24, v24, v12, vcc_lo
	v_cmp_gt_i32_e32 vcc_lo, 31, v22
	v_bfe_u32 v26, v1, 20, 11
	v_cvt_f32_f16_e32 v25, v25
	v_cmp_ne_u32_e64 s0, 0, v0
	v_mul_f16_e32 v8, v8, v23
	v_mul_f64_e32 v[4:5], s[24:25], v[4:5]
	s_wait_alu 0xfffd
	v_cndmask_b32_e32 v12, 0x7c00, v13, vcc_lo
	v_lshl_or_b32 v13, v15, 9, 0x7c00
	v_cmp_eq_u32_e32 vcc_lo, 0x40f, v22
	v_and_b32_e32 v15, 7, v24
	s_wait_alu 0xf1ff
	v_cndmask_b32_e64 v0, 0, 1, s0
	v_fma_f16 v6, v6, v21, -v8
	s_wait_alu 0xfffd
	v_cndmask_b32_e32 v22, v12, v13, vcc_lo
	v_cvt_f64_f32_e32 v[12:13], v25
	v_cmp_lt_i32_e32 vcc_lo, 5, v15
	v_cmp_eq_u32_e64 s0, 3, v15
	v_lshrrev_b32_e32 v25, 8, v1
	v_lshrrev_b32_e32 v15, 16, v16
	;; [unrolled: 1-line block ×3, first 2 shown]
	v_sub_nc_u32_e32 v24, 0x3f1, v26
	s_or_b32 vcc_lo, s0, vcc_lo
	v_and_or_b32 v0, 0xffe, v25, v0
	v_and_or_b32 v15, 0x8000, v15, v22
	s_wait_alu 0xfffe
	v_add_co_ci_u32_e32 v16, vcc_lo, 0, v16, vcc_lo
	v_cmp_ne_u32_e32 vcc_lo, 0, v2
	v_or_b32_e32 v25, 0x1000, v0
	v_med3_i32 v24, v24, 0, 13
	v_cvt_f32_f16_e32 v6, v6
	v_lshrrev_b32_e32 v1, 16, v1
	s_wait_alu 0xfffd
	v_cndmask_b32_e64 v2, 0, 1, vcc_lo
	v_cmp_gt_i32_e32 vcc_lo, 31, v19
	v_lshrrev_b32_e32 v14, v24, v25
	s_delay_alu instid0(VALU_DEP_3)
	v_lshl_or_b32 v2, v2, 9, 0x7c00
	s_wait_alu 0xfffd
	v_cndmask_b32_e32 v16, 0x7c00, v16, vcc_lo
	v_cmp_eq_u32_e32 vcc_lo, 0x40f, v19
	v_lshlrev_b32_e32 v22, v24, v14
	v_lshrrev_b32_e32 v19, 16, v3
	s_wait_alu 0xfffd
	v_cndmask_b32_e32 v16, v16, v2, vcc_lo
	v_add_co_u32 v2, vcc_lo, v10, s22
	s_wait_alu 0xfffd
	v_add_co_ci_u32_e32 v3, vcc_lo, s23, v11, vcc_lo
	v_and_or_b32 v4, 0x1ff, v5, v4
	v_cmp_ne_u32_e32 vcc_lo, v22, v25
	v_and_or_b32 v16, 0x8000, v19, v16
	v_and_b32_e32 v19, 0xffff, v15
	v_add_nc_u32_e32 v22, 0xfffffc10, v26
	v_mul_f64_e32 v[12:13], s[24:25], v[12:13]
	s_wait_alu 0xfffd
	v_cndmask_b32_e64 v15, 0, 1, vcc_lo
	v_cmp_ne_u32_e32 vcc_lo, 0, v4
	v_lshrrev_b32_e32 v8, 8, v5
	v_bfe_u32 v21, v5, 20, 11
	global_store_b32 v[10:11], v17, off
	global_store_b32 v[2:3], v18, off
	v_or_b32_e32 v14, v14, v15
	s_wait_alu 0xfffd
	v_cndmask_b32_e64 v4, 0, 1, vcc_lo
	v_lshl_or_b32 v15, v22, 12, v0
	v_cmp_gt_i32_e32 vcc_lo, 1, v22
	v_lshrrev_b32_e32 v17, 16, v9
	s_wait_loadcnt 0x1
	v_lshrrev_b32_e32 v18, 16, v7
	v_and_or_b32 v4, 0xffe, v8, v4
	v_sub_nc_u32_e32 v8, 0x3f1, v21
	v_lshl_or_b32 v16, v16, 16, v19
	v_lshrrev_b32_e32 v5, 16, v5
	v_mul_f16_e32 v19, v17, v18
	v_mul_f16_e32 v18, v9, v18
	v_med3_i32 v8, v8, 0, 13
	s_wait_alu 0xfffd
	v_cndmask_b32_e32 v23, v15, v14, vcc_lo
	v_cvt_f64_f32_e32 v[14:15], v6
	v_or_b32_e32 v6, 0x1000, v4
	v_add_co_u32 v2, vcc_lo, v2, s22
	s_wait_alu 0xfffd
	v_add_co_ci_u32_e32 v3, vcc_lo, s23, v3, vcc_lo
	s_delay_alu instid0(VALU_DEP_3) | instskip(SKIP_2) | instid1(VALU_DEP_3)
	v_lshrrev_b32_e32 v11, v8, v6
	v_fmac_f16_e32 v19, v9, v7
	v_fma_f16 v7, v7, v17, -v18
	v_lshlrev_b32_e32 v8, v8, v11
	v_and_b32_e32 v10, 7, v23
	s_delay_alu instid0(VALU_DEP_3) | instskip(NEXT) | instid1(VALU_DEP_3)
	v_cvt_f32_f16_e32 v7, v7
	v_cmp_ne_u32_e64 s1, v8, v6
	s_delay_alu instid0(VALU_DEP_3)
	v_cmp_lt_i32_e32 vcc_lo, 5, v10
	v_cmp_eq_u32_e64 s0, 3, v10
	v_lshrrev_b32_e32 v10, 2, v23
	v_add_nc_u32_e32 v8, 0xfffffc10, v21
	s_wait_alu 0xf1ff
	v_cndmask_b32_e64 v6, 0, 1, s1
	v_lshrrev_b32_e32 v23, 8, v13
	s_or_b32 vcc_lo, s0, vcc_lo
	v_cmp_eq_u32_e64 s1, 0x40f, v22
	s_wait_alu 0xfffe
	v_add_co_ci_u32_e32 v21, vcc_lo, 0, v10, vcc_lo
	v_cmp_ne_u32_e32 vcc_lo, 0, v0
	v_or_b32_e32 v6, v11, v6
	v_lshl_or_b32 v10, v8, 12, v4
	v_and_or_b32 v11, 0x1ff, v13, v12
	v_cvt_f32_f16_e32 v12, v19
	s_wait_alu 0xfffd
	v_cndmask_b32_e64 v0, 0, 1, vcc_lo
	v_cmp_gt_i32_e32 vcc_lo, 1, v8
	s_delay_alu instid0(VALU_DEP_2)
	v_lshl_or_b32 v0, v0, 9, 0x7c00
	s_wait_alu 0xfffd
	v_cndmask_b32_e32 v6, v10, v6, vcc_lo
	v_cmp_ne_u32_e32 vcc_lo, 0, v11
	v_cvt_f64_f32_e32 v[10:11], v12
	v_bfe_u32 v12, v13, 20, 11
	v_mul_f64_e32 v[14:15], s[24:25], v[14:15]
	v_and_b32_e32 v24, 7, v6
	s_wait_alu 0xfffd
	v_cndmask_b32_e64 v19, 0, 1, vcc_lo
	v_cmp_gt_i32_e32 vcc_lo, 31, v22
	v_lshrrev_b32_e32 v6, 2, v6
	v_cmp_eq_u32_e64 s0, 3, v24
	s_delay_alu instid0(VALU_DEP_4)
	v_and_or_b32 v19, 0xffe, v23, v19
	v_sub_nc_u32_e32 v23, 0x3f1, v12
	s_wait_alu 0xfffd
	v_cndmask_b32_e32 v21, 0x7c00, v21, vcc_lo
	v_cmp_lt_i32_e32 vcc_lo, 5, v24
	v_add_nc_u32_e32 v12, 0xfffffc10, v12
	v_or_b32_e32 v24, 0x1000, v19
	v_med3_i32 v23, v23, 0, 13
	s_wait_alu 0xf1ff
	v_cndmask_b32_e64 v0, v21, v0, s1
	s_or_b32 vcc_lo, s0, vcc_lo
	s_wait_alu 0xfffe
	v_add_co_ci_u32_e32 v6, vcc_lo, 0, v6, vcc_lo
	v_lshrrev_b32_e32 v21, v23, v24
	v_cmp_ne_u32_e32 vcc_lo, 0, v4
	v_and_or_b32 v22, 0x8000, v1, v0
	s_wait_alu 0xfffd
	v_cndmask_b32_e64 v4, 0, 1, vcc_lo
	v_cmp_gt_i32_e32 vcc_lo, 31, v8
	v_lshlrev_b32_e32 v0, v23, v21
	v_and_b32_e32 v22, 0xffff, v22
	s_delay_alu instid0(VALU_DEP_4)
	v_lshl_or_b32 v4, v4, 9, 0x7c00
	s_wait_alu 0xfffd
	v_cndmask_b32_e32 v1, 0x7c00, v6, vcc_lo
	v_cmp_ne_u32_e32 vcc_lo, v0, v24
	v_add_nc_u32_e32 v6, 0x1200, v33
	s_wait_alu 0xfffd
	v_cndmask_b32_e64 v23, 0, 1, vcc_lo
	v_cmp_eq_u32_e32 vcc_lo, 0x40f, v8
	v_mul_f64_e32 v[8:9], s[24:25], v[10:11]
	v_and_or_b32 v10, 0x1ff, v15, v14
	v_lshrrev_b32_e32 v11, 8, v15
	v_bfe_u32 v14, v15, 20, 11
	s_wait_alu 0xfffd
	v_cndmask_b32_e32 v4, v1, v4, vcc_lo
	ds_load_2addr_b32 v[0:1], v6 offset0:58 offset1:168
	v_or_b32_e32 v6, v21, v23
	v_lshl_or_b32 v21, v12, 12, v19
	v_cmp_gt_i32_e32 vcc_lo, 1, v12
	v_and_or_b32 v17, 0x8000, v5, v4
	v_cvt_f64_f32_e32 v[4:5], v7
	v_sub_nc_u32_e32 v7, 0x3f1, v14
	v_add_nc_u32_e32 v14, 0xfffffc10, v14
	s_wait_alu 0xfffd
	v_cndmask_b32_e32 v6, v21, v6, vcc_lo
	v_cmp_ne_u32_e32 vcc_lo, 0, v10
	v_lshl_or_b32 v17, v17, 16, v22
	v_med3_i32 v7, v7, 0, 13
	v_lshrrev_b32_e32 v15, 16, v15
	v_and_b32_e32 v18, 7, v6
	s_wait_alu 0xfffd
	v_cndmask_b32_e64 v10, 0, 1, vcc_lo
	v_lshrrev_b32_e32 v6, 2, v6
	s_delay_alu instid0(VALU_DEP_3) | instskip(NEXT) | instid1(VALU_DEP_3)
	v_cmp_lt_i32_e32 vcc_lo, 5, v18
	v_and_or_b32 v21, 0xffe, v11, v10
	s_wait_dscnt 0x0
	v_lshrrev_b32_e32 v10, 16, v0
	s_wait_loadcnt 0x0
	v_lshrrev_b32_e32 v11, 16, v20
	v_cmp_eq_u32_e64 s0, 3, v18
	v_or_b32_e32 v23, 0x1000, v21
	s_delay_alu instid0(VALU_DEP_3) | instskip(NEXT) | instid1(VALU_DEP_3)
	v_mul_f16_e32 v24, v10, v11
	s_or_b32 vcc_lo, s0, vcc_lo
	s_wait_alu 0xfffe
	v_add_co_ci_u32_e32 v6, vcc_lo, 0, v6, vcc_lo
	v_lshrrev_b32_e32 v18, v7, v23
	v_fmac_f16_e32 v24, v0, v20
	v_cmp_ne_u32_e32 vcc_lo, 0, v19
	v_and_or_b32 v8, 0x1ff, v9, v8
	v_mul_f16_e32 v0, v0, v11
	v_lshlrev_b32_e32 v22, v7, v18
	v_cvt_f32_f16_e32 v7, v24
	s_wait_alu 0xfffd
	v_cndmask_b32_e64 v19, 0, 1, vcc_lo
	v_cmp_gt_i32_e32 vcc_lo, 31, v12
	v_lshrrev_b32_e32 v11, 8, v9
	v_fma_f16 v0, v20, v10, -v0
	v_lshl_or_b32 v10, v14, 12, v21
	v_mul_f64_e32 v[4:5], s[24:25], v[4:5]
	s_wait_alu 0xfffd
	v_cndmask_b32_e32 v24, 0x7c00, v6, vcc_lo
	v_cvt_f64_f32_e32 v[6:7], v7
	v_cmp_ne_u32_e32 vcc_lo, v22, v23
	v_lshl_or_b32 v19, v19, 9, 0x7c00
	v_cvt_f32_f16_e32 v0, v0
	s_wait_alu 0xfffd
	v_cndmask_b32_e64 v22, 0, 1, vcc_lo
	v_cmp_ne_u32_e32 vcc_lo, 0, v8
	s_delay_alu instid0(VALU_DEP_2)
	v_or_b32_e32 v18, v18, v22
	s_wait_alu 0xfffd
	v_cndmask_b32_e64 v8, 0, 1, vcc_lo
	v_bfe_u32 v22, v9, 20, 11
	v_cmp_gt_i32_e32 vcc_lo, 1, v14
	v_lshrrev_b32_e32 v9, 16, v9
	s_delay_alu instid0(VALU_DEP_4) | instskip(NEXT) | instid1(VALU_DEP_4)
	v_and_or_b32 v8, 0xffe, v11, v8
	v_sub_nc_u32_e32 v11, 0x3f1, v22
	s_wait_alu 0xfffd
	v_cndmask_b32_e32 v18, v10, v18, vcc_lo
	v_cmp_eq_u32_e32 vcc_lo, 0x40f, v12
	v_or_b32_e32 v20, 0x1000, v8
	v_med3_i32 v23, v11, 0, 13
	v_cvt_f64_f32_e32 v[10:11], v0
	s_wait_alu 0xfffd
	v_cndmask_b32_e32 v0, v24, v19, vcc_lo
	v_and_b32_e32 v24, 7, v18
	v_add_co_u32 v12, vcc_lo, v2, s22
	v_lshrrev_b32_e32 v25, v23, v20
	v_lshrrev_b32_e32 v19, 16, v13
	s_wait_alu 0xfffd
	v_add_co_ci_u32_e32 v13, vcc_lo, s23, v3, vcc_lo
	v_cmp_lt_i32_e32 vcc_lo, 5, v24
	v_cmp_eq_u32_e64 s0, 3, v24
	v_lshrrev_b32_e32 v18, 2, v18
	v_lshlrev_b32_e32 v23, v23, v25
	v_and_or_b32 v0, 0x8000, v19, v0
	v_mul_f64_e32 v[6:7], s[24:25], v[6:7]
	s_or_b32 vcc_lo, s0, vcc_lo
	v_and_or_b32 v4, 0x1ff, v5, v4
	s_wait_alu 0xfffe
	v_add_co_ci_u32_e32 v18, vcc_lo, 0, v18, vcc_lo
	v_cmp_ne_u32_e64 s1, v23, v20
	v_cmp_ne_u32_e32 vcc_lo, 0, v21
	v_add_nc_u32_e32 v20, 0xfffffc10, v22
	v_and_b32_e32 v0, 0xffff, v0
	s_wait_alu 0xf1ff
	v_cndmask_b32_e64 v19, 0, 1, s1
	s_wait_alu 0xfffd
	v_cndmask_b32_e64 v21, 0, 1, vcc_lo
	v_cmp_gt_i32_e32 vcc_lo, 31, v14
	v_lshl_or_b32 v22, v20, 12, v8
	v_or_b32_e32 v19, v25, v19
	s_delay_alu instid0(VALU_DEP_4)
	v_lshl_or_b32 v21, v21, 9, 0x7c00
	s_wait_alu 0xfffd
	v_cndmask_b32_e32 v18, 0x7c00, v18, vcc_lo
	v_cmp_gt_i32_e32 vcc_lo, 1, v20
	s_wait_alu 0xfffd
	v_cndmask_b32_e32 v19, v22, v19, vcc_lo
	v_cmp_eq_u32_e32 vcc_lo, 0x40f, v14
	v_mul_f64_e32 v[10:11], s[24:25], v[10:11]
	v_bfe_u32 v22, v5, 20, 11
	s_wait_alu 0xfffd
	v_cndmask_b32_e32 v14, v18, v21, vcc_lo
	v_cmp_ne_u32_e32 vcc_lo, 0, v4
	v_and_b32_e32 v18, 7, v19
	v_lshrrev_b32_e32 v21, 8, v5
	v_lshrrev_b32_e32 v5, 16, v5
	v_and_or_b32 v14, 0x8000, v15, v14
	s_wait_alu 0xfffd
	v_cndmask_b32_e64 v4, 0, 1, vcc_lo
	v_cmp_lt_i32_e32 vcc_lo, 5, v18
	v_cmp_eq_u32_e64 s0, 3, v18
	v_sub_nc_u32_e32 v15, 0x3f1, v22
	v_lshl_or_b32 v0, v14, 16, v0
	v_lshrrev_b32_e32 v14, 2, v19
	v_and_or_b32 v4, 0xffe, v21, v4
	s_or_b32 vcc_lo, s0, vcc_lo
	v_med3_i32 v15, v15, 0, 13
	v_and_or_b32 v6, 0x1ff, v7, v6
	s_wait_alu 0xfffe
	v_add_co_ci_u32_e32 v14, vcc_lo, 0, v14, vcc_lo
	v_or_b32_e32 v18, 0x1000, v4
	v_cmp_ne_u32_e32 vcc_lo, 0, v8
	v_lshrrev_b32_e32 v21, 8, v7
	v_bfe_u32 v23, v7, 20, 11
	v_lshrrev_b32_e32 v7, 16, v7
	v_lshrrev_b32_e32 v19, v15, v18
	s_wait_alu 0xfffd
	v_cndmask_b32_e64 v8, 0, 1, vcc_lo
	v_cmp_gt_i32_e32 vcc_lo, 31, v20
	s_delay_alu instid0(VALU_DEP_3) | instskip(NEXT) | instid1(VALU_DEP_3)
	v_lshlrev_b32_e32 v15, v15, v19
	v_lshl_or_b32 v8, v8, 9, 0x7c00
	s_wait_alu 0xfffd
	v_cndmask_b32_e32 v14, 0x7c00, v14, vcc_lo
	v_cmp_ne_u32_e32 vcc_lo, 0, v6
	v_and_or_b32 v10, 0x1ff, v11, v10
	s_wait_alu 0xfffd
	v_cndmask_b32_e64 v6, 0, 1, vcc_lo
	v_cmp_ne_u32_e32 vcc_lo, v15, v18
	v_add_nc_u32_e32 v18, 0xfffffc10, v22
	v_bfe_u32 v22, v11, 20, 11
	s_delay_alu instid0(VALU_DEP_4) | instskip(SKIP_4) | instid1(VALU_DEP_2)
	v_and_or_b32 v6, 0xffe, v21, v6
	s_wait_alu 0xfffd
	v_cndmask_b32_e64 v15, 0, 1, vcc_lo
	v_sub_nc_u32_e32 v21, 0x3f1, v23
	v_cmp_eq_u32_e32 vcc_lo, 0x40f, v20
	v_med3_i32 v20, v21, 0, 13
	s_wait_alu 0xfffd
	v_cndmask_b32_e32 v8, v14, v8, vcc_lo
	v_or_b32_e32 v14, v19, v15
	v_lshl_or_b32 v15, v18, 12, v4
	v_or_b32_e32 v19, 0x1000, v6
	v_cmp_gt_i32_e32 vcc_lo, 1, v18
	v_lshrrev_b32_e32 v21, 8, v11
	v_and_or_b32 v8, 0x8000, v9, v8
	s_wait_alu 0xfffd
	v_cndmask_b32_e32 v14, v15, v14, vcc_lo
	v_lshrrev_b32_e32 v15, v20, v19
	v_cmp_ne_u32_e32 vcc_lo, 0, v10
	v_and_b32_e32 v8, 0xffff, v8
	s_delay_alu instid0(VALU_DEP_4) | instskip(NEXT) | instid1(VALU_DEP_4)
	v_and_b32_e32 v24, 7, v14
	v_lshlrev_b32_e32 v20, v20, v15
	s_wait_alu 0xfffd
	v_cndmask_b32_e64 v10, 0, 1, vcc_lo
	v_lshrrev_b32_e32 v14, 2, v14
	v_cmp_lt_i32_e32 vcc_lo, 5, v24
	v_cmp_ne_u32_e64 s0, v20, v19
	s_delay_alu instid0(VALU_DEP_4)
	v_and_or_b32 v9, 0xffe, v21, v10
	v_sub_nc_u32_e32 v10, 0x3f1, v22
	v_add_nc_u32_e32 v21, 0xfffffc10, v23
	s_wait_alu 0xf1ff
	v_cndmask_b32_e64 v19, 0, 1, s0
	v_cmp_eq_u32_e64 s0, 3, v24
	v_or_b32_e32 v20, 0x1000, v9
	v_med3_i32 v10, v10, 0, 13
	v_lshl_or_b32 v23, v21, 12, v6
	v_or_b32_e32 v15, v15, v19
	s_or_b32 vcc_lo, s0, vcc_lo
	s_wait_alu 0xfffe
	v_add_co_ci_u32_e32 v14, vcc_lo, 0, v14, vcc_lo
	v_lshrrev_b32_e32 v19, v10, v20
	v_cmp_gt_i32_e32 vcc_lo, 1, v21
	s_delay_alu instid0(VALU_DEP_2)
	v_lshlrev_b32_e32 v10, v10, v19
	s_wait_alu 0xfffd
	v_cndmask_b32_e32 v15, v23, v15, vcc_lo
	v_cmp_ne_u32_e32 vcc_lo, 0, v4
	s_wait_alu 0xfffd
	v_cndmask_b32_e64 v4, 0, 1, vcc_lo
	v_cmp_ne_u32_e32 vcc_lo, v10, v20
	v_add_nc_u32_e32 v20, 0xfffffc10, v22
	v_and_b32_e32 v22, 7, v15
	s_delay_alu instid0(VALU_DEP_4)
	v_lshl_or_b32 v4, v4, 9, 0x7c00
	s_wait_alu 0xfffd
	v_cndmask_b32_e64 v10, 0, 1, vcc_lo
	v_cmp_gt_i32_e32 vcc_lo, 31, v18
	v_cmp_gt_i32_e64 s1, 1, v20
	v_cmp_eq_u32_e64 s0, 3, v22
	s_delay_alu instid0(VALU_DEP_4)
	v_or_b32_e32 v10, v19, v10
	v_lshl_or_b32 v19, v20, 12, v9
	s_wait_alu 0xfffd
	v_cndmask_b32_e32 v14, 0x7c00, v14, vcc_lo
	v_cmp_lt_i32_e32 vcc_lo, 5, v22
	s_wait_alu 0xf1ff
	v_cndmask_b32_e64 v10, v19, v10, s1
	v_cmp_eq_u32_e64 s1, 0x40f, v18
	s_or_b32 vcc_lo, s0, vcc_lo
	s_delay_alu instid0(VALU_DEP_1)
	v_cndmask_b32_e64 v4, v14, v4, s1
	v_lshrrev_b32_e32 v14, 2, v15
	v_and_b32_e32 v15, 7, v10
	v_lshrrev_b32_e32 v10, 2, v10
	v_cmp_gt_i32_e64 s1, 31, v21
	s_wait_alu 0xfffe
	v_add_co_ci_u32_e32 v14, vcc_lo, 0, v14, vcc_lo
	v_cmp_ne_u32_e32 vcc_lo, 0, v6
	v_cmp_eq_u32_e64 s0, 3, v15
	s_wait_alu 0xf1ff
	s_delay_alu instid0(VALU_DEP_3) | instskip(SKIP_3) | instid1(VALU_DEP_2)
	v_cndmask_b32_e64 v14, 0x7c00, v14, s1
	s_wait_alu 0xfffd
	v_cndmask_b32_e64 v6, 0, 1, vcc_lo
	v_cmp_lt_i32_e32 vcc_lo, 5, v15
	v_lshl_or_b32 v6, v6, 9, 0x7c00
	s_or_b32 vcc_lo, s0, vcc_lo
	s_wait_alu 0xfffe
	v_add_co_ci_u32_e32 v10, vcc_lo, 0, v10, vcc_lo
	v_cmp_ne_u32_e32 vcc_lo, 0, v9
	s_wait_alu 0xfffd
	v_cndmask_b32_e64 v9, 0, 1, vcc_lo
	v_cmp_eq_u32_e32 vcc_lo, 0x40f, v21
	s_delay_alu instid0(VALU_DEP_2) | instskip(SKIP_4) | instid1(VALU_DEP_3)
	v_lshl_or_b32 v9, v9, 9, 0x7c00
	s_wait_alu 0xfffd
	v_cndmask_b32_e32 v6, v14, v6, vcc_lo
	v_cmp_gt_i32_e32 vcc_lo, 31, v20
	v_and_or_b32 v14, 0x8000, v5, v4
	v_and_or_b32 v6, 0x8000, v7, v6
	s_wait_alu 0xfffd
	v_cndmask_b32_e32 v10, 0x7c00, v10, vcc_lo
	v_cmp_eq_u32_e32 vcc_lo, 0x40f, v20
	s_wait_alu 0xfffd
	s_delay_alu instid0(VALU_DEP_2)
	v_cndmask_b32_e32 v7, v10, v9, vcc_lo
	v_lshrrev_b32_e32 v9, 16, v11
	v_add_co_u32 v4, vcc_lo, v12, s22
	s_wait_alu 0xfffd
	v_add_co_ci_u32_e32 v5, vcc_lo, s23, v13, vcc_lo
	v_lshl_or_b32 v10, v14, 16, v8
	v_and_or_b32 v8, 0x8000, v9, v7
	v_and_b32_e32 v9, 0xffff, v6
	v_add_co_u32 v6, vcc_lo, v4, s22
	s_wait_alu 0xfffd
	v_add_co_ci_u32_e32 v7, vcc_lo, s23, v5, vcc_lo
	s_delay_alu instid0(VALU_DEP_3) | instskip(NEXT) | instid1(VALU_DEP_3)
	v_lshl_or_b32 v11, v8, 16, v9
	v_add_co_u32 v8, vcc_lo, v6, s22
	s_wait_alu 0xfffd
	s_delay_alu instid0(VALU_DEP_3)
	v_add_co_ci_u32_e32 v9, vcc_lo, s23, v7, vcc_lo
	global_store_b32 v[2:3], v16, off
	global_store_b32 v[12:13], v17, off
	global_store_b32 v[4:5], v0, off
	global_store_b32 v[6:7], v10, off
	global_store_b32 v[8:9], v11, off
	global_load_b32 v0, v33, s[20:21] offset:5280
	v_lshrrev_b32_e32 v2, 16, v1
	s_wait_loadcnt 0x0
	v_lshrrev_b32_e32 v3, 16, v0
	s_delay_alu instid0(VALU_DEP_1) | instskip(SKIP_1) | instid1(VALU_DEP_2)
	v_mul_f16_e32 v4, v2, v3
	v_mul_f16_e32 v3, v1, v3
	v_fmac_f16_e32 v4, v1, v0
	s_delay_alu instid0(VALU_DEP_2) | instskip(NEXT) | instid1(VALU_DEP_2)
	v_fma_f16 v0, v0, v2, -v3
	v_cvt_f32_f16_e32 v1, v4
	s_delay_alu instid0(VALU_DEP_2) | instskip(NEXT) | instid1(VALU_DEP_2)
	v_cvt_f32_f16_e32 v2, v0
	v_cvt_f64_f32_e32 v[0:1], v1
	s_delay_alu instid0(VALU_DEP_2) | instskip(NEXT) | instid1(VALU_DEP_2)
	v_cvt_f64_f32_e32 v[2:3], v2
	v_mul_f64_e32 v[0:1], s[24:25], v[0:1]
	s_delay_alu instid0(VALU_DEP_2) | instskip(NEXT) | instid1(VALU_DEP_2)
	v_mul_f64_e32 v[2:3], s[24:25], v[2:3]
	v_and_or_b32 v0, 0x1ff, v1, v0
	s_delay_alu instid0(VALU_DEP_2)
	v_and_or_b32 v2, 0x1ff, v3, v2
	v_lshrrev_b32_e32 v4, 8, v1
	v_bfe_u32 v5, v1, 20, 11
	v_lshrrev_b32_e32 v6, 8, v3
	v_cmp_ne_u32_e32 vcc_lo, 0, v0
	v_bfe_u32 v7, v3, 20, 11
	v_lshrrev_b32_e32 v1, 16, v1
	v_lshrrev_b32_e32 v3, 16, v3
	s_wait_alu 0xfffd
	v_cndmask_b32_e64 v0, 0, 1, vcc_lo
	v_cmp_ne_u32_e32 vcc_lo, 0, v2
	s_delay_alu instid0(VALU_DEP_2) | instskip(SKIP_3) | instid1(VALU_DEP_3)
	v_and_or_b32 v0, 0xffe, v4, v0
	s_wait_alu 0xfffd
	v_cndmask_b32_e64 v2, 0, 1, vcc_lo
	v_sub_nc_u32_e32 v4, 0x3f1, v5
	v_or_b32_e32 v10, 0x1000, v0
	s_delay_alu instid0(VALU_DEP_3) | instskip(SKIP_1) | instid1(VALU_DEP_4)
	v_and_or_b32 v2, 0xffe, v6, v2
	v_sub_nc_u32_e32 v6, 0x3f1, v7
	v_med3_i32 v4, v4, 0, 13
	v_add_nc_u32_e32 v7, 0xfffffc10, v7
	s_delay_alu instid0(VALU_DEP_4) | instskip(NEXT) | instid1(VALU_DEP_4)
	v_or_b32_e32 v11, 0x1000, v2
	v_med3_i32 v6, v6, 0, 13
	s_delay_alu instid0(VALU_DEP_4) | instskip(NEXT) | instid1(VALU_DEP_2)
	v_lshrrev_b32_e32 v12, v4, v10
	v_lshrrev_b32_e32 v13, v6, v11
	s_delay_alu instid0(VALU_DEP_2) | instskip(NEXT) | instid1(VALU_DEP_2)
	v_lshlrev_b32_e32 v4, v4, v12
	v_lshlrev_b32_e32 v6, v6, v13
	s_delay_alu instid0(VALU_DEP_2) | instskip(SKIP_2) | instid1(VALU_DEP_3)
	v_cmp_ne_u32_e32 vcc_lo, v4, v10
	s_wait_alu 0xfffd
	v_cndmask_b32_e64 v4, 0, 1, vcc_lo
	v_cmp_ne_u32_e32 vcc_lo, v6, v11
	v_lshl_or_b32 v11, v7, 12, v2
	s_delay_alu instid0(VALU_DEP_3) | instskip(SKIP_2) | instid1(VALU_DEP_1)
	v_or_b32_e32 v4, v12, v4
	s_wait_alu 0xfffd
	v_cndmask_b32_e64 v6, 0, 1, vcc_lo
	v_or_b32_e32 v6, v13, v6
	v_add_nc_u32_e32 v5, 0xfffffc10, v5
	s_delay_alu instid0(VALU_DEP_1) | instskip(SKIP_2) | instid1(VALU_DEP_2)
	v_lshl_or_b32 v10, v5, 12, v0
	v_cmp_gt_i32_e32 vcc_lo, 1, v5
	s_wait_alu 0xfffd
	v_cndmask_b32_e32 v4, v10, v4, vcc_lo
	v_cmp_gt_i32_e32 vcc_lo, 1, v7
	s_delay_alu instid0(VALU_DEP_2) | instskip(SKIP_3) | instid1(VALU_DEP_3)
	v_and_b32_e32 v10, 7, v4
	s_wait_alu 0xfffd
	v_cndmask_b32_e32 v6, v11, v6, vcc_lo
	v_lshrrev_b32_e32 v4, 2, v4
	v_cmp_lt_i32_e32 vcc_lo, 5, v10
	v_cmp_eq_u32_e64 s0, 3, v10
	s_delay_alu instid0(VALU_DEP_4) | instskip(SKIP_1) | instid1(VALU_DEP_3)
	v_and_b32_e32 v11, 7, v6
	v_lshrrev_b32_e32 v6, 2, v6
	s_or_b32 vcc_lo, s0, vcc_lo
	s_delay_alu instid0(VALU_DEP_2)
	v_cmp_lt_i32_e64 s1, 5, v11
	s_wait_alu 0xfffe
	v_add_co_ci_u32_e32 v4, vcc_lo, 0, v4, vcc_lo
	v_cmp_eq_u32_e64 s2, 3, v11
	v_cmp_ne_u32_e32 vcc_lo, 0, v0
	s_wait_alu 0xfffd
	v_cndmask_b32_e64 v0, 0, 1, vcc_lo
	s_delay_alu instid0(VALU_DEP_3)
	s_or_b32 vcc_lo, s2, s1
	s_wait_alu 0xfffe
	v_add_co_ci_u32_e32 v6, vcc_lo, 0, v6, vcc_lo
	v_cmp_ne_u32_e32 vcc_lo, 0, v2
	v_lshl_or_b32 v0, v0, 9, 0x7c00
	s_wait_alu 0xfffd
	v_cndmask_b32_e64 v2, 0, 1, vcc_lo
	v_cmp_gt_i32_e32 vcc_lo, 31, v5
	s_delay_alu instid0(VALU_DEP_2)
	v_lshl_or_b32 v2, v2, 9, 0x7c00
	s_wait_alu 0xfffd
	v_cndmask_b32_e32 v4, 0x7c00, v4, vcc_lo
	v_cmp_gt_i32_e32 vcc_lo, 31, v7
	s_wait_alu 0xfffd
	v_cndmask_b32_e32 v6, 0x7c00, v6, vcc_lo
	v_cmp_eq_u32_e32 vcc_lo, 0x40f, v5
	s_wait_alu 0xfffd
	v_cndmask_b32_e32 v0, v4, v0, vcc_lo
	v_cmp_eq_u32_e32 vcc_lo, 0x40f, v7
	s_delay_alu instid0(VALU_DEP_2) | instskip(SKIP_2) | instid1(VALU_DEP_2)
	v_and_or_b32 v0, 0x8000, v1, v0
	s_wait_alu 0xfffd
	v_cndmask_b32_e32 v2, v6, v2, vcc_lo
	v_and_b32_e32 v0, 0xffff, v0
	s_delay_alu instid0(VALU_DEP_2) | instskip(NEXT) | instid1(VALU_DEP_1)
	v_and_or_b32 v1, 0x8000, v3, v2
	v_lshl_or_b32 v2, v1, 16, v0
	v_add_co_u32 v0, vcc_lo, v8, s22
	s_wait_alu 0xfffd
	v_add_co_ci_u32_e32 v1, vcc_lo, s23, v9, vcc_lo
	global_store_b32 v[0:1], v2, off
.LBB0_23:
	s_nop 0
	s_sendmsg sendmsg(MSG_DEALLOC_VGPRS)
	s_endpgm
	.section	.rodata,"a",@progbits
	.p2align	6, 0x0
	.amdhsa_kernel bluestein_single_back_len1430_dim1_half_op_CI_CI
		.amdhsa_group_segment_fixed_size 5720
		.amdhsa_private_segment_fixed_size 0
		.amdhsa_kernarg_size 104
		.amdhsa_user_sgpr_count 2
		.amdhsa_user_sgpr_dispatch_ptr 0
		.amdhsa_user_sgpr_queue_ptr 0
		.amdhsa_user_sgpr_kernarg_segment_ptr 1
		.amdhsa_user_sgpr_dispatch_id 0
		.amdhsa_user_sgpr_private_segment_size 0
		.amdhsa_wavefront_size32 1
		.amdhsa_uses_dynamic_stack 0
		.amdhsa_enable_private_segment 0
		.amdhsa_system_sgpr_workgroup_id_x 1
		.amdhsa_system_sgpr_workgroup_id_y 0
		.amdhsa_system_sgpr_workgroup_id_z 0
		.amdhsa_system_sgpr_workgroup_info 0
		.amdhsa_system_vgpr_workitem_id 0
		.amdhsa_next_free_vgpr 135
		.amdhsa_next_free_sgpr 26
		.amdhsa_reserve_vcc 1
		.amdhsa_float_round_mode_32 0
		.amdhsa_float_round_mode_16_64 0
		.amdhsa_float_denorm_mode_32 3
		.amdhsa_float_denorm_mode_16_64 3
		.amdhsa_fp16_overflow 0
		.amdhsa_workgroup_processor_mode 1
		.amdhsa_memory_ordered 1
		.amdhsa_forward_progress 0
		.amdhsa_round_robin_scheduling 0
		.amdhsa_exception_fp_ieee_invalid_op 0
		.amdhsa_exception_fp_denorm_src 0
		.amdhsa_exception_fp_ieee_div_zero 0
		.amdhsa_exception_fp_ieee_overflow 0
		.amdhsa_exception_fp_ieee_underflow 0
		.amdhsa_exception_fp_ieee_inexact 0
		.amdhsa_exception_int_div_zero 0
	.end_amdhsa_kernel
	.text
.Lfunc_end0:
	.size	bluestein_single_back_len1430_dim1_half_op_CI_CI, .Lfunc_end0-bluestein_single_back_len1430_dim1_half_op_CI_CI
                                        ; -- End function
	.section	.AMDGPU.csdata,"",@progbits
; Kernel info:
; codeLenInByte = 25628
; NumSgprs: 28
; NumVgprs: 135
; ScratchSize: 0
; MemoryBound: 0
; FloatMode: 240
; IeeeMode: 1
; LDSByteSize: 5720 bytes/workgroup (compile time only)
; SGPRBlocks: 3
; VGPRBlocks: 16
; NumSGPRsForWavesPerEU: 28
; NumVGPRsForWavesPerEU: 135
; Occupancy: 10
; WaveLimiterHint : 1
; COMPUTE_PGM_RSRC2:SCRATCH_EN: 0
; COMPUTE_PGM_RSRC2:USER_SGPR: 2
; COMPUTE_PGM_RSRC2:TRAP_HANDLER: 0
; COMPUTE_PGM_RSRC2:TGID_X_EN: 1
; COMPUTE_PGM_RSRC2:TGID_Y_EN: 0
; COMPUTE_PGM_RSRC2:TGID_Z_EN: 0
; COMPUTE_PGM_RSRC2:TIDIG_COMP_CNT: 0
	.text
	.p2alignl 7, 3214868480
	.fill 96, 4, 3214868480
	.type	__hip_cuid_8cd74235a183e032,@object ; @__hip_cuid_8cd74235a183e032
	.section	.bss,"aw",@nobits
	.globl	__hip_cuid_8cd74235a183e032
__hip_cuid_8cd74235a183e032:
	.byte	0                               ; 0x0
	.size	__hip_cuid_8cd74235a183e032, 1

	.ident	"AMD clang version 19.0.0git (https://github.com/RadeonOpenCompute/llvm-project roc-6.4.0 25133 c7fe45cf4b819c5991fe208aaa96edf142730f1d)"
	.section	".note.GNU-stack","",@progbits
	.addrsig
	.addrsig_sym __hip_cuid_8cd74235a183e032
	.amdgpu_metadata
---
amdhsa.kernels:
  - .args:
      - .actual_access:  read_only
        .address_space:  global
        .offset:         0
        .size:           8
        .value_kind:     global_buffer
      - .actual_access:  read_only
        .address_space:  global
        .offset:         8
        .size:           8
        .value_kind:     global_buffer
      - .actual_access:  read_only
        .address_space:  global
        .offset:         16
        .size:           8
        .value_kind:     global_buffer
      - .actual_access:  read_only
        .address_space:  global
        .offset:         24
        .size:           8
        .value_kind:     global_buffer
      - .actual_access:  read_only
        .address_space:  global
        .offset:         32
        .size:           8
        .value_kind:     global_buffer
      - .offset:         40
        .size:           8
        .value_kind:     by_value
      - .address_space:  global
        .offset:         48
        .size:           8
        .value_kind:     global_buffer
      - .address_space:  global
        .offset:         56
        .size:           8
        .value_kind:     global_buffer
      - .address_space:  global
        .offset:         64
        .size:           8
        .value_kind:     global_buffer
      - .address_space:  global
        .offset:         72
        .size:           8
        .value_kind:     global_buffer
      - .offset:         80
        .size:           4
        .value_kind:     by_value
      - .address_space:  global
        .offset:         88
        .size:           8
        .value_kind:     global_buffer
      - .address_space:  global
        .offset:         96
        .size:           8
        .value_kind:     global_buffer
    .group_segment_fixed_size: 5720
    .kernarg_segment_align: 8
    .kernarg_segment_size: 104
    .language:       OpenCL C
    .language_version:
      - 2
      - 0
    .max_flat_workgroup_size: 143
    .name:           bluestein_single_back_len1430_dim1_half_op_CI_CI
    .private_segment_fixed_size: 0
    .sgpr_count:     28
    .sgpr_spill_count: 0
    .symbol:         bluestein_single_back_len1430_dim1_half_op_CI_CI.kd
    .uniform_work_group_size: 1
    .uses_dynamic_stack: false
    .vgpr_count:     135
    .vgpr_spill_count: 0
    .wavefront_size: 32
    .workgroup_processor_mode: 1
amdhsa.target:   amdgcn-amd-amdhsa--gfx1201
amdhsa.version:
  - 1
  - 2
...

	.end_amdgpu_metadata
